;; amdgpu-corpus repo=ROCm/rocFFT kind=compiled arch=gfx1201 opt=O3
	.text
	.amdgcn_target "amdgcn-amd-amdhsa--gfx1201"
	.amdhsa_code_object_version 6
	.protected	bluestein_single_fwd_len275_dim1_half_op_CI_CI ; -- Begin function bluestein_single_fwd_len275_dim1_half_op_CI_CI
	.globl	bluestein_single_fwd_len275_dim1_half_op_CI_CI
	.p2align	8
	.type	bluestein_single_fwd_len275_dim1_half_op_CI_CI,@function
bluestein_single_fwd_len275_dim1_half_op_CI_CI: ; @bluestein_single_fwd_len275_dim1_half_op_CI_CI
; %bb.0:
	s_load_b128 s[8:11], s[0:1], 0x28
	v_mul_u32_u24_e32 v1, 0x4a8, v0
	s_mov_b32 s2, exec_lo
	v_mov_b32_e32 v9, 0
	s_delay_alu instid0(VALU_DEP_2) | instskip(NEXT) | instid1(VALU_DEP_1)
	v_lshrrev_b32_e32 v1, 16, v1
	v_add_nc_u32_e32 v8, ttmp9, v1
	s_wait_kmcnt 0x0
	s_delay_alu instid0(VALU_DEP_1)
	v_cmpx_gt_u64_e64 s[8:9], v[8:9]
	s_cbranch_execz .LBB0_15
; %bb.1:
	s_clause 0x1
	s_load_b64 s[12:13], s[0:1], 0x0
	s_load_b64 s[8:9], s[0:1], 0x38
	v_mul_lo_u16 v1, v1, 55
	s_delay_alu instid0(VALU_DEP_1) | instskip(NEXT) | instid1(VALU_DEP_1)
	v_sub_nc_u16 v0, v0, v1
	v_and_b32_e32 v21, 0xffff, v0
	v_cmp_gt_u16_e32 vcc_lo, 25, v0
	s_delay_alu instid0(VALU_DEP_2)
	v_lshlrev_b32_e32 v20, 2, v21
	s_and_saveexec_b32 s3, vcc_lo
	s_cbranch_execz .LBB0_3
; %bb.2:
	s_load_b64 s[4:5], s[0:1], 0x18
	s_wait_kmcnt 0x0
	s_load_b128 s[4:7], s[4:5], 0x0
	s_wait_kmcnt 0x0
	v_mad_co_u64_u32 v[0:1], null, s6, v8, 0
	v_mad_co_u64_u32 v[2:3], null, s4, v21, 0
	s_delay_alu instid0(VALU_DEP_1) | instskip(NEXT) | instid1(VALU_DEP_1)
	v_mad_co_u64_u32 v[4:5], null, s7, v8, v[1:2]
	v_mad_co_u64_u32 v[5:6], null, s5, v21, v[3:4]
	v_mov_b32_e32 v1, v4
	s_mul_u64 s[4:5], s[4:5], 0x64
	s_clause 0x7
	global_load_b32 v6, v20, s[12:13]
	global_load_b32 v7, v20, s[12:13] offset:100
	global_load_b32 v9, v20, s[12:13] offset:200
	;; [unrolled: 1-line block ×7, first 2 shown]
	v_lshlrev_b64_e32 v[0:1], 2, v[0:1]
	v_mov_b32_e32 v3, v5
	s_delay_alu instid0(VALU_DEP_2) | instskip(NEXT) | instid1(VALU_DEP_2)
	v_add_co_u32 v0, s2, s10, v0
	v_lshlrev_b64_e32 v[2:3], 2, v[2:3]
	s_delay_alu instid0(VALU_DEP_4) | instskip(NEXT) | instid1(VALU_DEP_2)
	v_add_co_ci_u32_e64 v1, s2, s11, v1, s2
	v_add_co_u32 v0, s2, v0, v2
	s_wait_alu 0xf1ff
	s_delay_alu instid0(VALU_DEP_2)
	v_add_co_ci_u32_e64 v1, s2, v1, v3, s2
	global_load_b32 v15, v[0:1], off
	s_wait_alu 0xfffe
	v_add_co_u32 v0, s2, v0, s4
	s_wait_alu 0xf1ff
	v_add_co_ci_u32_e64 v1, s2, s5, v1, s2
	s_clause 0x2
	global_load_b32 v16, v20, s[12:13] offset:800
	global_load_b32 v17, v20, s[12:13] offset:900
	;; [unrolled: 1-line block ×3, first 2 shown]
	v_add_co_u32 v2, s2, v0, s4
	s_wait_alu 0xf1ff
	v_add_co_ci_u32_e64 v3, s2, s5, v1, s2
	global_load_b32 v19, v[0:1], off
	v_add_co_u32 v0, s2, v2, s4
	s_wait_alu 0xf1ff
	v_add_co_ci_u32_e64 v1, s2, s5, v3, s2
	s_clause 0x1
	global_load_b32 v22, v[2:3], off
	global_load_b32 v23, v[0:1], off
	v_add_co_u32 v0, s2, v0, s4
	s_wait_alu 0xf1ff
	v_add_co_ci_u32_e64 v1, s2, s5, v1, s2
	s_delay_alu instid0(VALU_DEP_2) | instskip(SKIP_1) | instid1(VALU_DEP_2)
	v_add_co_u32 v2, s2, v0, s4
	s_wait_alu 0xf1ff
	v_add_co_ci_u32_e64 v3, s2, s5, v1, s2
	global_load_b32 v24, v[0:1], off
	v_add_co_u32 v0, s2, v2, s4
	s_wait_alu 0xf1ff
	v_add_co_ci_u32_e64 v1, s2, s5, v3, s2
	global_load_b32 v25, v[2:3], off
	;; [unrolled: 4-line block ×4, first 2 shown]
	v_add_co_u32 v2, s2, v0, s4
	s_wait_alu 0xf1ff
	v_add_co_ci_u32_e64 v3, s2, s5, v1, s2
	s_delay_alu instid0(VALU_DEP_2) | instskip(SKIP_1) | instid1(VALU_DEP_2)
	v_add_co_u32 v4, s2, v2, s4
	s_wait_alu 0xf1ff
	v_add_co_ci_u32_e64 v5, s2, s5, v3, s2
	global_load_b32 v0, v[0:1], off
	global_load_b32 v1, v[2:3], off
	;; [unrolled: 1-line block ×3, first 2 shown]
	s_wait_loadcnt 0x15
	v_lshrrev_b32_e32 v3, 16, v6
	s_wait_loadcnt 0x14
	v_lshrrev_b32_e32 v4, 16, v7
	;; [unrolled: 2-line block ×9, first 2 shown]
	v_mul_f16_e32 v36, v3, v15
	s_wait_loadcnt 0xc
	v_lshrrev_b32_e32 v34, 16, v16
	s_wait_loadcnt 0xb
	v_lshrrev_b32_e32 v35, 16, v17
	v_mul_f16_e32 v3, v3, v32
	v_fma_f16 v32, v6, v32, -v36
	s_wait_loadcnt 0xa
	v_lshrrev_b32_e32 v38, 16, v18
	s_wait_loadcnt 0x9
	v_lshrrev_b32_e32 v37, 16, v19
	v_mul_f16_e32 v39, v4, v19
	v_fmac_f16_e32 v3, v6, v15
	s_delay_alu instid0(VALU_DEP_3)
	v_mul_f16_e32 v4, v4, v37
	s_wait_loadcnt 0x8
	v_lshrrev_b32_e32 v6, 16, v22
	v_fma_f16 v15, v7, v37, -v39
	v_mul_f16_e32 v36, v5, v22
	v_pack_b32_f16 v3, v3, v32
	v_fmac_f16_e32 v4, v7, v19
	v_mul_f16_e32 v5, v5, v6
	s_wait_loadcnt 0x7
	v_lshrrev_b32_e32 v7, 16, v23
	v_mul_f16_e32 v19, v28, v23
	v_fma_f16 v6, v9, v6, -v36
	v_pack_b32_f16 v4, v4, v15
	v_fmac_f16_e32 v5, v9, v22
	v_mul_f16_e32 v9, v28, v7
	s_wait_loadcnt 0x6
	v_lshrrev_b32_e32 v15, 16, v24
	v_fma_f16 v7, v10, v7, -v19
	v_mul_f16_e32 v19, v29, v24
	ds_store_2addr_b32 v20, v3, v4 offset1:25
	v_pack_b32_f16 v3, v5, v6
	v_fmac_f16_e32 v9, v10, v23
	v_mul_f16_e32 v4, v29, v15
	s_wait_loadcnt 0x5
	v_lshrrev_b32_e32 v5, 16, v25
	v_mul_f16_e32 v6, v30, v25
	v_fma_f16 v10, v11, v15, -v19
	v_pack_b32_f16 v7, v9, v7
	v_fmac_f16_e32 v4, v11, v24
	v_mul_f16_e32 v9, v30, v5
	v_fma_f16 v5, v12, v5, -v6
	s_wait_loadcnt 0x4
	v_lshrrev_b32_e32 v6, 16, v26
	v_mul_f16_e32 v11, v31, v26
	v_pack_b32_f16 v4, v4, v10
	v_fmac_f16_e32 v9, v12, v25
	s_wait_loadcnt 0x3
	v_lshrrev_b32_e32 v10, 16, v27
	v_mul_f16_e32 v12, v31, v6
	v_mul_f16_e32 v15, v33, v27
	v_fma_f16 v6, v13, v6, -v11
	v_pack_b32_f16 v5, v9, v5
	v_mul_f16_e32 v9, v33, v10
	v_fmac_f16_e32 v12, v13, v26
	v_fma_f16 v10, v14, v10, -v15
	s_wait_loadcnt 0x2
	v_lshrrev_b32_e32 v11, 16, v0
	v_mul_f16_e32 v13, v34, v0
	v_fmac_f16_e32 v9, v14, v27
	s_wait_loadcnt 0x1
	v_lshrrev_b32_e32 v14, 16, v1
	s_wait_loadcnt 0x0
	v_lshrrev_b32_e32 v15, 16, v2
	v_mul_f16_e32 v19, v34, v11
	v_fma_f16 v11, v16, v11, -v13
	v_mul_f16_e32 v13, v35, v1
	v_mul_f16_e32 v22, v35, v14
	;; [unrolled: 1-line block ×4, first 2 shown]
	v_fmac_f16_e32 v19, v16, v0
	v_fma_f16 v0, v17, v14, -v13
	v_fmac_f16_e32 v22, v17, v1
	v_fmac_f16_e32 v23, v18, v2
	v_fma_f16 v1, v18, v15, -v24
	v_pack_b32_f16 v2, v12, v6
	v_pack_b32_f16 v6, v9, v10
	;; [unrolled: 1-line block ×5, first 2 shown]
	ds_store_2addr_b32 v20, v3, v7 offset0:50 offset1:75
	ds_store_2addr_b32 v20, v4, v5 offset0:100 offset1:125
	;; [unrolled: 1-line block ×4, first 2 shown]
	ds_store_b32 v20, v1 offset:1000
.LBB0_3:
	s_or_b32 exec_lo, exec_lo, s3
	s_clause 0x1
	s_load_b64 s[2:3], s[0:1], 0x20
	s_load_b64 s[4:5], s[0:1], 0x8
	v_mov_b32_e32 v0, 0
	global_wb scope:SCOPE_SE
	s_wait_dscnt 0x0
	s_wait_kmcnt 0x0
	s_barrier_signal -1
	s_barrier_wait -1
	global_inv scope:SCOPE_SE
                                        ; implicit-def: $vgpr4
                                        ; implicit-def: $vgpr7
                                        ; implicit-def: $vgpr2
                                        ; implicit-def: $vgpr14
                                        ; implicit-def: $vgpr11
	s_and_saveexec_b32 s0, vcc_lo
	s_cbranch_execz .LBB0_5
; %bb.4:
	ds_load_2addr_b32 v[0:1], v20 offset1:25
	ds_load_2addr_b32 v[13:14], v20 offset0:50 offset1:75
	ds_load_2addr_b32 v[6:7], v20 offset0:100 offset1:125
	;; [unrolled: 1-line block ×4, first 2 shown]
	ds_load_b32 v11, v20 offset:1000
.LBB0_5:
	s_wait_alu 0xfffe
	s_or_b32 exec_lo, exec_lo, s0
	s_wait_dscnt 0x0
	v_pk_add_f16 v9, v1, v11 neg_lo:[0,1] neg_hi:[0,1]
	v_pk_add_f16 v12, v13, v3 neg_lo:[0,1] neg_hi:[0,1]
	v_pk_add_f16 v33, v11, v1
	v_pk_add_f16 v61, v14, v2 neg_lo:[0,1] neg_hi:[0,1]
	v_pk_add_f16 v49, v3, v13
	v_lshrrev_b32_e32 v10, 16, v9
	v_lshrrev_b32_e32 v19, 16, v12
	;; [unrolled: 1-line block ×3, first 2 shown]
	v_mul_f16_e32 v18, 0xbb47, v9
	v_mul_f16_e32 v48, 0xba0c, v9
	;; [unrolled: 1-line block ×7, first 2 shown]
	v_fmamk_f16 v10, v33, 0x3abb, v15
	v_fmamk_f16 v23, v33, 0x36a6, v26
	v_mul_f16_e32 v30, 0xba0c, v19
	v_lshrrev_b32_e32 v32, 16, v61
	v_fma_f16 v17, v52, 0x36a6, -v18
	v_fmamk_f16 v24, v33, 0xb08e, v35
	v_mul_f16_e32 v25, 0xb482, v9
	v_fma_f16 v28, v52, 0xb93d, -v48
	v_fmamk_f16 v44, v49, 0x36a6, v16
	v_lshrrev_b32_e32 v54, 16, v49
	v_mul_f16_e32 v34, 0xba0c, v12
	v_fmamk_f16 v46, v49, 0xb93d, v30
	v_mul_f16_e32 v38, 0x3482, v19
	v_mul_f16_e32 v58, 0x3beb, v12
	v_pk_add_f16 v57, v2, v14
	v_mul_f16_e32 v31, 0x3482, v32
	v_pk_add_f16 v77, v6, v5 neg_lo:[0,1] neg_hi:[0,1]
	v_add_f16_e32 v10, v10, v0
	v_lshrrev_b32_e32 v59, 16, v0
	v_add_f16_e32 v23, v23, v0
	v_pk_mul_f16 v70, 0xb482b853, v9
	v_mul_f16_e32 v40, 0xbbeb, v9
	v_fmamk_f16 v29, v52, 0xbbad, v25
	v_fma_f16 v25, v52, 0xbbad, -v25
	v_mul_f16_e32 v41, 0x3482, v12
	v_fma_f16 v56, v54, 0xb93d, -v34
	v_mul_f16_e32 v50, 0x3beb, v19
	v_fmamk_f16 v63, v49, 0xbbad, v38
	v_mul_f16_e32 v79, 0x3853, v12
	v_mul_f16_e32 v19, 0xbbeb, v32
	v_fma_f16 v69, v54, 0xb08e, -v58
	v_lshrrev_b32_e32 v60, 16, v57
	v_fmamk_f16 v76, v57, 0xbbad, v31
	v_mul_f16_e32 v43, 0x3b47, v32
	v_lshrrev_b32_e32 v55, 16, v77
	v_mul_f16_e32 v66, 0xb853, v61
	v_pk_add_f16 v62, v5, v6
	v_add_f16_e32 v10, v44, v10
	v_add_f16_e32 v17, v17, v59
	;; [unrolled: 1-line block ×4, first 2 shown]
	v_pk_fma_f16 v44, 0x3abbbbad, v33, v70 op_sel:[0,0,1] op_sel_hi:[1,1,0] neg_lo:[0,0,1] neg_hi:[0,0,1]
	v_pk_mul_f16 v73, 0x3853bb47, v12
	v_add_f16_e32 v12, v28, v59
	v_fma_f16 v22, v52, 0xb08e, -v40
	v_fma_f16 v72, v54, 0x3abb, -v79
	v_fmamk_f16 v74, v57, 0xb08e, v19
	v_mul_f16_e32 v37, 0x3482, v61
	v_mul_f16_e32 v53, 0xb853, v32
	v_fmamk_f16 v81, v57, 0x36a6, v43
	v_mul_f16_e32 v84, 0xba0c, v61
	v_mul_f16_e32 v32, 0xba0c, v55
	v_fma_f16 v85, v60, 0x3abb, -v66
	v_lshrrev_b32_e32 v65, 16, v62
	v_mul_f16_e32 v47, 0xb853, v55
	v_mul_f16_e32 v68, 0xb482, v77
	v_pk_add_f16 v98, v7, v4 neg_lo:[0,1] neg_hi:[0,1]
	v_add_f16_e32 v17, v56, v17
	v_add_f16_e32 v24, v63, v24
	v_pk_add_f16 v28, v44, v0
	v_pk_fma_f16 v56, 0x36a63abb, v49, v73 op_sel:[0,0,1] op_sel_hi:[1,1,0] neg_lo:[0,0,1] neg_hi:[0,0,1]
	v_add_f16_e32 v25, v25, v59
	v_add_f16_e32 v12, v69, v12
	;; [unrolled: 1-line block ×3, first 2 shown]
	v_pk_mul_f16 v76, 0xba0cbbeb, v61
	v_fmamk_f16 v27, v33, 0xb93d, v42
	v_fma_f16 v64, v54, 0xbbad, -v41
	v_mul_f16_e32 v80, 0x3abb, v54
	v_mul_f16_e32 v45, 0x3b47, v61
	v_fma_f16 v78, v60, 0xbbad, -v37
	v_mul_f16_e32 v36, 0x3beb, v55
	v_fma_f16 v87, v60, 0xb93d, -v84
	v_fmamk_f16 v88, v62, 0xb93d, v32
	v_mul_f16_e32 v39, 0x3beb, v77
	v_mul_f16_e32 v51, 0xb853, v77
	v_fmamk_f16 v91, v62, 0x3abb, v47
	v_mul_f16_e32 v94, 0x3b47, v77
	v_fma_f16 v95, v65, 0xbbad, -v68
	v_lshrrev_b32_e32 v23, 16, v98
	v_add_f16_e32 v22, v22, v59
	v_pk_add_f16 v28, v56, v28
	v_add_f16_e32 v25, v72, v25
	v_add_f16_e32 v10, v74, v10
	v_add_f16_e32 v24, v81, v24
	v_pk_fma_f16 v61, 0xb08eb93d, v57, v76 op_sel:[0,0,1] op_sel_hi:[1,1,0] neg_lo:[0,0,1] neg_hi:[0,0,1]
	v_add_f16_e32 v12, v85, v12
	v_pk_fma_f16 v85, 0x3abbbbad, v33, v70 op_sel:[0,0,1] op_sel_hi:[1,1,0]
	v_pk_mul_f16 v63, 0x36a63abb, v49
	v_pk_mul_f16 v77, 0x3b47ba0c, v77
	v_fmamk_f16 v67, v49, 0xb08e, v50
	v_mul_f16_e32 v86, 0xb93d, v60
	v_fmamk_f16 v89, v62, 0xb08e, v36
	v_fma_f16 v90, v65, 0xb08e, -v39
	v_fma_f16 v97, v65, 0x36a6, -v94
	v_pk_add_f16 v71, v4, v7
	v_add_f16_e32 v27, v27, v0
	v_add_f16_e32 v22, v64, v22
	v_mul_f16_e32 v46, 0xb482, v23
	v_mul_f16_e32 v44, 0x3853, v23
	v_add_f16_e32 v17, v78, v17
	v_mul_f16_e32 v69, 0xba0c, v23
	v_mul_f16_e32 v74, 0x3b47, v23
	v_pk_add_f16 v23, v61, v28
	v_add_f16_e32 v25, v87, v25
	v_add_f16_e32 v10, v88, v10
	;; [unrolled: 1-line block ×3, first 2 shown]
	v_pk_mul_f16 v64, 0xb08eb93d, v57
	v_add_f16_e32 v88, v95, v12
	v_pk_fma_f16 v12, 0xb93d36a6, v62, v77 op_sel:[0,0,1] op_sel_hi:[1,1,0] neg_lo:[0,0,1] neg_hi:[0,0,1]
	v_pack_b32_f16 v24, v79, v85
	v_perm_b32 v80, v0, v80, 0x5040100
	v_pack_b32_f16 v29, v29, v63
	v_perm_b32 v85, v73, v0, 0x7060302
	v_fma_f16 v82, v60, 0x36a6, -v45
	v_mul_f16_e32 v96, 0x36a6, v65
	v_add_f16_e32 v27, v67, v27
	v_lshrrev_b32_e32 v75, 16, v71
	v_fmamk_f16 v67, v71, 0xbbad, v46
	v_add_f16_e32 v9, v89, v9
	v_add_f16_e32 v17, v90, v17
	v_pk_mul_f16 v61, 0xb93d36a6, v62
	v_pk_add_f16 v89, v12, v23
	v_add_f16_e32 v90, v97, v25
	v_pk_add_f16 v12, v24, v80
	v_pk_add_f16 v24, v29, v85
	v_pack_b32_f16 v25, v84, v64
	v_bfi_b32 v29, 0xffff, v86, v76
	v_fmamk_f16 v83, v57, 0x3abb, v53
	v_mul_f16_e32 v55, 0xb482, v55
	v_fma_f16 v92, v65, 0x3abb, -v51
	v_add_f16_e32 v22, v82, v22
	v_mul_f16_e32 v72, 0xba0c, v98
	v_pk_mul_f16 v79, 0xbbebb482, v98
	v_add_f16_e32 v23, v67, v10
	v_pk_mul_f16 v67, 0xbbadb08e, v71
	v_pk_add_f16 v12, v24, v12
	v_pk_add_f16 v24, v25, v29
	v_pack_b32_f16 v25, v94, v61
	v_bfi_b32 v29, 0xffff, v96, v77
	v_mul_f16_e32 v84, 0xbbeb, v98
	v_mul_f16_e32 v85, 0xb08e, v75
	v_fmamk_f16 v93, v62, 0xbbad, v55
	v_mul_f16_e32 v56, 0x3853, v98
	v_fmamk_f16 v99, v71, 0x3abb, v44
	v_add_f16_e32 v27, v83, v27
	v_fmamk_f16 v81, v71, 0xb93d, v69
	v_mul_f16_e32 v78, 0x3b47, v98
	v_fma_f16 v28, v75, 0xb93d, -v72
	v_add_f16_e32 v22, v92, v22
	v_pk_add_f16 v12, v24, v12
	v_pk_add_f16 v29, v25, v29
	v_pack_b32_f16 v86, v84, v67
	v_bfi_b32 v85, 0xffff, v85, v79
	v_fma_f16 v100, v75, 0x3abb, -v56
	v_fmamk_f16 v82, v71, 0x36a6, v74
	v_fma_f16 v83, v75, 0x36a6, -v78
	v_add_f16_e32 v27, v93, v27
	v_pk_fma_f16 v80, 0xbbadb08e, v71, v79 op_sel:[0,0,1] op_sel_hi:[1,1,0] neg_lo:[0,0,1] neg_hi:[0,0,1]
	v_add_f16_e32 v10, v99, v9
	v_add_f16_e32 v9, v81, v87
	;; [unrolled: 1-line block ×3, first 2 shown]
	v_pk_add_f16 v22, v29, v12
	v_pk_add_f16 v28, v86, v85
	v_fma_f16 v81, v75, 0xb08e, -v84
	v_add_f16_e32 v24, v100, v17
	v_add_f16_e32 v12, v82, v27
	;; [unrolled: 1-line block ×3, first 2 shown]
	v_pk_add_f16 v17, v80, v89
	v_pk_add_f16 v29, v28, v22
	v_add_f16_e32 v28, v81, v90
	v_mul_lo_u16 v22, v21, 11
	global_wb scope:SCOPE_SE
	s_barrier_signal -1
	s_barrier_wait -1
	global_inv scope:SCOPE_SE
	s_and_saveexec_b32 s0, vcc_lo
	s_cbranch_execz .LBB0_7
; %bb.6:
	v_pk_add_f16 v1, v1, v0
	v_mul_f16_e32 v82, 0x36a6, v52
	v_mul_f16_e32 v84, 0xb08e, v52
	;; [unrolled: 1-line block ×7, first 2 shown]
	v_pk_mul_f16 v33, 0x3abbbbad, v33
	v_pk_add_f16 v1, v13, v1
	v_add_f16_e32 v48, v48, v52
	v_mul_f16_e32 v52, 0xb08e, v54
	v_alignbit_b32 v70, v70, v70, 16
	v_bfi_b32 v13, 0xffff, v15, v33
	v_pk_add_f16 v1, v14, v1
	v_add_f16_e32 v48, v48, v59
	v_add_f16_e32 v52, v58, v52
	v_mul_f16_e32 v58, 0x3abb, v60
	v_mul_f16_e32 v86, 0x36a6, v49
	v_alignbit_b32 v73, v73, v73, 16
	v_pk_add_f16 v13, v80, v13 neg_lo:[0,1] neg_hi:[0,1]
	v_pk_add_f16 v14, v70, v33
	v_bfi_b32 v16, 0xffff, v16, v63
	v_pk_add_f16 v1, v6, v1
	v_mul_f16_e32 v87, 0xb93d, v49
	v_mul_f16_e32 v88, 0xb93d, v54
	;; [unrolled: 1-line block ×4, first 2 shown]
	v_add_f16_e32 v40, v40, v84
	v_sub_f16_e32 v35, v83, v35
	v_add_f16_e32 v18, v18, v82
	v_sub_f16_e32 v26, v81, v26
	v_mul_f16_e32 v49, 0xb08e, v49
	v_mul_f16_e32 v92, 0xbbad, v60
	v_add_f16_e32 v48, v52, v48
	v_add_f16_e32 v52, v66, v58
	v_mul_f16_e32 v58, 0x36a6, v60
	v_mul_f16_e32 v60, 0xbbad, v65
	v_sub_f16_e32 v42, v85, v42
	v_mul_f16_e32 v90, 0xb08e, v57
	v_alignbit_b32 v76, v76, v76, 16
	v_bfi_b32 v6, 0xffff, v19, v64
	v_bfi_b32 v13, 0xffff, v13, v14
	v_pk_add_f16 v14, v86, v16 neg_lo:[0,1] neg_hi:[0,1]
	v_pk_add_f16 v16, v73, v63
	v_pk_add_f16 v1, v7, v1
	v_mul_f16_e32 v91, 0xbbad, v57
	v_mul_f16_e32 v93, 0x36a6, v57
	v_add_f16_e32 v40, v40, v59
	v_add_f16_e32 v41, v41, v54
	;; [unrolled: 1-line block ×3, first 2 shown]
	v_sub_f16_e32 v38, v89, v38
	v_add_f16_e32 v18, v18, v59
	v_add_f16_e32 v34, v34, v88
	;; [unrolled: 1-line block ×3, first 2 shown]
	v_sub_f16_e32 v30, v87, v30
	v_mul_f16_e32 v57, 0x3abb, v57
	v_add_f16_e32 v48, v52, v48
	v_add_f16_e32 v60, v68, v60
	v_sub_f16_e32 v49, v49, v50
	v_mul_f16_e32 v50, 0x36a6, v75
	v_add_f16_e32 v42, v42, v0
	v_mul_f16_e32 v66, 0xb93d, v62
	v_alignbit_b32 v77, v77, v77, 16
	v_pk_add_f16 v6, v90, v6 neg_lo:[0,1] neg_hi:[0,1]
	v_pk_add_f16 v7, v76, v64
	v_bfi_b32 v19, 0xffff, v32, v61
	v_bfi_b32 v14, 0xffff, v14, v16
	v_pk_add_f16 v1, v4, v1
	v_pk_add_f16 v0, v13, v0
	v_mul_f16_e32 v52, 0xb08e, v62
	v_mul_f16_e32 v68, 0xb08e, v65
	;; [unrolled: 1-line block ×4, first 2 shown]
	v_add_f16_e32 v40, v41, v40
	v_add_f16_e32 v41, v45, v58
	;; [unrolled: 1-line block ×3, first 2 shown]
	v_sub_f16_e32 v38, v93, v43
	v_add_f16_e32 v18, v34, v18
	v_add_f16_e32 v34, v37, v92
	;; [unrolled: 1-line block ×3, first 2 shown]
	v_sub_f16_e32 v30, v91, v31
	v_mul_f16_e32 v62, 0xbbad, v62
	v_add_f16_e32 v48, v60, v48
	v_add_f16_e32 v50, v78, v50
	;; [unrolled: 1-line block ×3, first 2 shown]
	v_sub_f16_e32 v53, v57, v53
	v_mul_f16_e32 v60, 0xbbad, v71
	v_alignbit_b32 v79, v79, v79, 16
	v_bfi_b32 v4, 0xffff, v6, v7
	v_pk_add_f16 v6, v66, v19 neg_lo:[0,1] neg_hi:[0,1]
	v_pk_add_f16 v7, v77, v61
	v_pk_add_f16 v1, v5, v1
	v_pk_add_f16 v0, v14, v0
	v_bfi_b32 v5, 0xffff, v46, v67
	v_mul_f16_e32 v78, 0x3abb, v71
	v_mul_f16_e32 v49, 0x3abb, v75
	;; [unrolled: 1-line block ×4, first 2 shown]
	v_add_f16_e32 v40, v41, v40
	v_add_f16_e32 v41, v51, v65
	;; [unrolled: 1-line block ×3, first 2 shown]
	v_sub_f16_e32 v38, v85, v47
	v_add_f16_e32 v18, v34, v18
	v_add_f16_e32 v34, v39, v68
	;; [unrolled: 1-line block ×3, first 2 shown]
	v_sub_f16_e32 v30, v52, v36
	v_mul_f16_e32 v71, 0x36a6, v71
	v_add_f16_e32 v48, v50, v48
	v_add_f16_e32 v42, v53, v42
	v_sub_f16_e32 v50, v62, v55
	v_bfi_b32 v6, 0xffff, v6, v7
	v_pk_add_f16 v1, v2, v1
	v_pk_add_f16 v0, v4, v0
	v_pk_add_f16 v2, v60, v5 neg_lo:[0,1] neg_hi:[0,1]
	v_pk_add_f16 v4, v79, v67
	v_add_f16_e32 v40, v41, v40
	v_add_f16_e32 v41, v72, v75
	;; [unrolled: 1-line block ×3, first 2 shown]
	v_sub_f16_e32 v38, v84, v69
	v_add_f16_e32 v15, v34, v18
	v_add_f16_e32 v18, v56, v49
	v_add_f16_e32 v13, v30, v26
	v_sub_f16_e32 v5, v78, v44
	v_add_f16_e32 v42, v50, v42
	v_sub_f16_e32 v45, v71, v74
	v_and_b32_e32 v7, 0xffff, v22
	v_pk_add_f16 v1, v3, v1
	v_pk_add_f16 v0, v6, v0
	v_bfi_b32 v2, 0xffff, v2, v4
	v_add_f16_e32 v40, v41, v40
	v_add_f16_e32 v35, v38, v35
	;; [unrolled: 1-line block ×5, first 2 shown]
	v_lshlrev_b32_e32 v5, 2, v7
	v_pk_add_f16 v1, v11, v1
	v_pk_add_f16 v0, v2, v0
	v_pack_b32_f16 v2, v35, v40
	v_pack_b32_f16 v3, v4, v3
	;; [unrolled: 1-line block ×3, first 2 shown]
	v_perm_b32 v6, v29, v17, 0x5040100
	v_alignbit_b32 v7, v28, v29, 16
	v_perm_b32 v11, v25, v9, 0x5040100
	v_perm_b32 v13, v27, v12, 0x5040100
	v_bfi_b32 v14, 0xffff, v23, v17
	v_perm_b32 v15, v24, v10, 0x5040100
	ds_store_2addr_b32 v5, v1, v0 offset1:1
	ds_store_2addr_b32 v5, v3, v2 offset0:2 offset1:3
	ds_store_b32 v5, v4 offset:16
	ds_store_2addr_b32 v5, v6, v7 offset0:5 offset1:6
	ds_store_2addr_b32 v5, v13, v11 offset0:7 offset1:8
	;; [unrolled: 1-line block ×3, first 2 shown]
.LBB0_7:
	s_wait_alu 0xfffe
	s_or_b32 exec_lo, exec_lo, s0
	v_and_b32_e32 v0, 0xff, v21
	s_load_b128 s[0:3], s[2:3], 0x0
	global_wb scope:SCOPE_SE
	s_wait_dscnt 0x0
	s_wait_kmcnt 0x0
	s_barrier_signal -1
	s_barrier_wait -1
	v_mul_lo_u16 v0, 0x75, v0
	global_inv scope:SCOPE_SE
	v_lshlrev_b32_e32 v15, 4, v21
	v_lshrrev_b16 v0, 8, v0
	s_delay_alu instid0(VALU_DEP_1) | instskip(NEXT) | instid1(VALU_DEP_1)
	v_sub_nc_u16 v1, v21, v0
	v_lshrrev_b16 v1, 1, v1
	s_delay_alu instid0(VALU_DEP_1) | instskip(NEXT) | instid1(VALU_DEP_1)
	v_and_b32_e32 v1, 0x7f, v1
	v_add_nc_u16 v0, v1, v0
	s_delay_alu instid0(VALU_DEP_1) | instskip(NEXT) | instid1(VALU_DEP_1)
	v_lshrrev_b16 v11, 3, v0
	v_mul_lo_u16 v0, v11, 11
	v_and_b32_e32 v11, 0xffff, v11
	s_delay_alu instid0(VALU_DEP_2) | instskip(NEXT) | instid1(VALU_DEP_2)
	v_sub_nc_u16 v0, v21, v0
	v_mul_u32_u24_e32 v11, 55, v11
	s_delay_alu instid0(VALU_DEP_2) | instskip(NEXT) | instid1(VALU_DEP_1)
	v_and_b32_e32 v13, 0xff, v0
	v_lshlrev_b32_e32 v0, 4, v13
	s_delay_alu instid0(VALU_DEP_3)
	v_add_lshl_u32 v26, v11, v13, 2
	global_load_b128 v[0:3], v0, s[4:5]
	ds_load_2addr_b32 v[4:5], v20 offset1:55
	ds_load_2addr_b32 v[6:7], v20 offset0:110 offset1:165
	ds_load_b32 v14, v20 offset:880
	global_wb scope:SCOPE_SE
	s_wait_loadcnt_dscnt 0x0
	s_barrier_signal -1
	s_barrier_wait -1
	global_inv scope:SCOPE_SE
	v_lshrrev_b32_e32 v18, 16, v5
	v_lshrrev_b32_e32 v19, 16, v6
	;; [unrolled: 1-line block ×9, first 2 shown]
	s_delay_alu instid0(VALU_DEP_4)
	v_mul_f16_e32 v11, v18, v36
	v_mul_f16_e32 v13, v5, v36
	v_mul_f16_e32 v32, v19, v37
	v_mul_f16_e32 v33, v6, v37
	v_mul_f16_e32 v38, v30, v35
	v_mul_f16_e32 v39, v7, v35
	v_mul_f16_e32 v40, v31, v34
	v_mul_f16_e32 v41, v14, v34
	v_fma_f16 v5, v5, v0, -v11
	v_fmac_f16_e32 v13, v18, v0
	v_fma_f16 v6, v6, v1, -v32
	v_fmac_f16_e32 v33, v19, v1
	;; [unrolled: 2-line block ×4, first 2 shown]
	v_add_f16_e32 v14, v4, v5
	v_add_f16_e32 v18, v6, v7
	v_sub_f16_e32 v31, v5, v6
	v_sub_f16_e32 v32, v11, v7
	v_add_f16_e32 v43, v16, v13
	v_add_f16_e32 v44, v33, v39
	;; [unrolled: 1-line block ×4, first 2 shown]
	v_sub_f16_e32 v19, v13, v41
	v_sub_f16_e32 v30, v33, v39
	;; [unrolled: 1-line block ×7, first 2 shown]
	v_add_f16_e32 v6, v14, v6
	v_fma_f16 v14, -0.5, v18, v4
	v_add_f16_e32 v18, v31, v32
	v_add_f16_e32 v32, v43, v33
	v_fma_f16 v33, -0.5, v44, v16
	v_sub_f16_e32 v42, v7, v11
	v_fmac_f16_e32 v4, -0.5, v38
	v_fmac_f16_e32 v16, -0.5, v48
	v_sub_f16_e32 v47, v41, v39
	v_sub_f16_e32 v49, v39, v41
	v_add_f16_e32 v6, v6, v7
	v_fmamk_f16 v7, v19, 0x3b9c, v14
	v_add_f16_e32 v32, v32, v39
	v_fmamk_f16 v39, v5, 0xbb9c, v33
	v_add_f16_e32 v31, v40, v42
	v_fmamk_f16 v40, v30, 0xbb9c, v4
	v_fmac_f16_e32 v4, 0x3b9c, v30
	v_fmamk_f16 v42, v45, 0x3b9c, v16
	v_fmac_f16_e32 v16, 0xbb9c, v45
	v_fmac_f16_e32 v14, 0xbb9c, v19
	;; [unrolled: 1-line block ×3, first 2 shown]
	v_add_f16_e32 v38, v46, v47
	v_fmac_f16_e32 v7, 0x38b4, v30
	v_fmac_f16_e32 v39, 0xb8b4, v45
	v_add_f16_e32 v13, v13, v49
	v_fmac_f16_e32 v40, 0x38b4, v19
	v_fmac_f16_e32 v4, 0xb8b4, v19
	;; [unrolled: 1-line block ×6, first 2 shown]
	v_add_f16_e32 v6, v6, v11
	v_add_f16_e32 v11, v32, v41
	v_fmac_f16_e32 v7, 0x34f2, v18
	v_fmac_f16_e32 v39, 0x34f2, v38
	;; [unrolled: 1-line block ×8, first 2 shown]
	v_pack_b32_f16 v5, v6, v11
	v_pack_b32_f16 v6, v7, v39
	;; [unrolled: 1-line block ×5, first 2 shown]
	ds_store_2addr_b32 v26, v5, v6 offset1:11
	ds_store_2addr_b32 v26, v7, v4 offset0:22 offset1:33
	ds_store_b32 v26, v11 offset:176
	global_wb scope:SCOPE_SE
	s_wait_dscnt 0x0
	s_barrier_signal -1
	s_barrier_wait -1
	global_inv scope:SCOPE_SE
	global_load_b128 v[4:7], v15, s[4:5] offset:176
	ds_load_2addr_b32 v[15:16], v20 offset1:55
	ds_load_2addr_b32 v[13:14], v20 offset0:110 offset1:165
	ds_load_b32 v11, v20 offset:880
	s_wait_dscnt 0x2
	v_lshrrev_b32_e32 v18, 16, v16
	s_wait_dscnt 0x1
	v_lshrrev_b32_e32 v19, 16, v13
	v_lshrrev_b32_e32 v38, 16, v14
	s_wait_dscnt 0x0
	v_lshrrev_b32_e32 v40, 16, v11
	v_lshrrev_b32_e32 v39, 16, v15
	s_wait_loadcnt 0x0
	v_lshrrev_b32_e32 v32, 16, v4
	v_lshrrev_b32_e32 v33, 16, v5
	;; [unrolled: 1-line block ×4, first 2 shown]
	s_delay_alu instid0(VALU_DEP_4) | instskip(NEXT) | instid1(VALU_DEP_4)
	v_mul_f16_e32 v41, v18, v32
	v_mul_f16_e32 v43, v19, v33
	v_mul_f16_e32 v44, v13, v33
	v_mul_f16_e32 v45, v38, v30
	v_mul_f16_e32 v46, v14, v30
	v_mul_f16_e32 v47, v40, v31
	v_mul_f16_e32 v42, v16, v32
	v_mul_f16_e32 v48, v11, v31
	v_fma_f16 v16, v16, v4, -v41
	v_fma_f16 v13, v13, v5, -v43
	v_fmac_f16_e32 v44, v19, v5
	v_fma_f16 v14, v14, v6, -v45
	v_fmac_f16_e32 v46, v38, v6
	;; [unrolled: 2-line block ×3, first 2 shown]
	v_fmac_f16_e32 v48, v40, v7
	v_add_f16_e32 v18, v15, v16
	v_add_f16_e32 v19, v13, v14
	v_sub_f16_e32 v40, v16, v13
	v_sub_f16_e32 v41, v11, v14
	v_add_f16_e32 v51, v44, v46
	v_add_f16_e32 v45, v16, v11
	;; [unrolled: 1-line block ×4, first 2 shown]
	v_sub_f16_e32 v38, v42, v48
	v_sub_f16_e32 v47, v13, v16
	;; [unrolled: 1-line block ×8, first 2 shown]
	v_add_f16_e32 v13, v18, v13
	v_fma_f16 v16, -0.5, v19, v15
	v_add_f16_e32 v19, v40, v41
	v_fma_f16 v40, -0.5, v51, v39
	v_sub_f16_e32 v43, v44, v46
	v_fmac_f16_e32 v15, -0.5, v45
	v_add_f16_e32 v41, v50, v44
	v_fmac_f16_e32 v39, -0.5, v56
	v_sub_f16_e32 v55, v48, v46
	v_add_f16_e32 v45, v47, v49
	v_add_f16_e32 v47, v42, v57
	;; [unrolled: 1-line block ×3, first 2 shown]
	v_fmamk_f16 v14, v38, 0x3b9c, v16
	v_fmamk_f16 v42, v52, 0xbb9c, v40
	;; [unrolled: 1-line block ×3, first 2 shown]
	v_fmac_f16_e32 v15, 0x3b9c, v43
	v_add_f16_e32 v46, v41, v46
	v_fmamk_f16 v41, v53, 0x3b9c, v39
	v_fmac_f16_e32 v39, 0xbb9c, v53
	v_fmac_f16_e32 v16, 0xbb9c, v38
	;; [unrolled: 1-line block ×3, first 2 shown]
	v_add_f16_e32 v44, v54, v55
	v_fmac_f16_e32 v14, 0x38b4, v43
	v_fmac_f16_e32 v42, 0xb8b4, v53
	;; [unrolled: 1-line block ×8, first 2 shown]
	v_add_f16_e32 v13, v13, v11
	v_add_f16_e32 v38, v46, v48
	v_fmac_f16_e32 v14, 0x34f2, v19
	v_fmac_f16_e32 v42, 0x34f2, v44
	;; [unrolled: 1-line block ×8, first 2 shown]
	v_pack_b32_f16 v11, v13, v38
	v_pack_b32_f16 v19, v14, v42
	;; [unrolled: 1-line block ×5, first 2 shown]
	ds_store_2addr_b32 v20, v11, v19 offset1:55
	ds_store_2addr_b32 v20, v43, v44 offset0:110 offset1:165
	ds_store_b32 v20, v45 offset:880
	global_wb scope:SCOPE_SE
	s_wait_dscnt 0x0
	s_barrier_signal -1
	s_barrier_wait -1
	global_inv scope:SCOPE_SE
	s_and_saveexec_b32 s4, vcc_lo
	s_cbranch_execz .LBB0_9
; %bb.8:
	global_load_b32 v11, v20, s[12:13] offset:1100
	s_add_nc_u64 s[6:7], s[12:13], 0x44c
	s_clause 0x9
	global_load_b32 v19, v20, s[6:7] offset:100
	global_load_b32 v53, v20, s[6:7] offset:200
	;; [unrolled: 1-line block ×10, first 2 shown]
	ds_load_b32 v43, v20
	s_wait_dscnt 0x0
	v_lshrrev_b32_e32 v44, 16, v43
	s_wait_loadcnt 0x8
	v_lshrrev_b32_e32 v62, 16, v53
	s_wait_loadcnt 0x7
	;; [unrolled: 2-line block ×5, first 2 shown]
	v_lshrrev_b32_e32 v66, 16, v57
	v_lshrrev_b32_e32 v45, 16, v11
	s_wait_loadcnt 0x3
	v_lshrrev_b32_e32 v67, 16, v58
	s_wait_loadcnt 0x2
	v_lshrrev_b32_e32 v68, 16, v59
	s_wait_loadcnt 0x1
	v_lshrrev_b32_e32 v69, 16, v60
	s_wait_loadcnt 0x0
	v_lshrrev_b32_e32 v70, 16, v61
	v_mul_f16_e32 v46, v44, v45
	v_mul_f16_e32 v45, v43, v45
	s_delay_alu instid0(VALU_DEP_2) | instskip(NEXT) | instid1(VALU_DEP_2)
	v_fma_f16 v43, v43, v11, -v46
	v_fmac_f16_e32 v45, v44, v11
	s_delay_alu instid0(VALU_DEP_1)
	v_pack_b32_f16 v11, v43, v45
	ds_store_b32 v20, v11
	ds_load_2addr_b32 v[43:44], v20 offset0:25 offset1:50
	ds_load_2addr_b32 v[45:46], v20 offset0:75 offset1:100
	;; [unrolled: 1-line block ×5, first 2 shown]
	v_lshrrev_b32_e32 v11, 16, v19
	s_wait_dscnt 0x4
	v_lshrrev_b32_e32 v71, 16, v43
	v_lshrrev_b32_e32 v73, 16, v44
	s_wait_dscnt 0x3
	v_lshrrev_b32_e32 v75, 16, v45
	;; [unrolled: 3-line block ×5, first 2 shown]
	v_lshrrev_b32_e32 v89, 16, v52
	v_mul_f16_e32 v72, v43, v11
	v_mul_f16_e32 v74, v44, v62
	;; [unrolled: 1-line block ×20, first 2 shown]
	v_fmac_f16_e32 v72, v71, v19
	v_fmac_f16_e32 v74, v73, v53
	v_fma_f16 v11, v43, v19, -v11
	v_fma_f16 v19, v44, v53, -v62
	v_fmac_f16_e32 v76, v75, v54
	v_fmac_f16_e32 v78, v77, v55
	v_fma_f16 v43, v45, v54, -v63
	v_fma_f16 v44, v46, v55, -v64
	;; [unrolled: 4-line block ×5, first 2 shown]
	v_pack_b32_f16 v11, v11, v72
	v_pack_b32_f16 v19, v19, v74
	;; [unrolled: 1-line block ×10, first 2 shown]
	ds_store_2addr_b32 v20, v11, v19 offset0:25 offset1:50
	ds_store_2addr_b32 v20, v43, v44 offset0:75 offset1:100
	;; [unrolled: 1-line block ×5, first 2 shown]
.LBB0_9:
	s_wait_alu 0xfffe
	s_or_b32 exec_lo, exec_lo, s4
	v_lshrrev_b32_e32 v11, 16, v29
	global_wb scope:SCOPE_SE
	s_wait_dscnt 0x0
	s_barrier_signal -1
	s_barrier_wait -1
	global_inv scope:SCOPE_SE
	s_and_saveexec_b32 s4, vcc_lo
	s_cbranch_execz .LBB0_11
; %bb.10:
	ds_load_2addr_b32 v[13:14], v20 offset1:25
	ds_load_2addr_b32 v[18:19], v20 offset0:50 offset1:75
	ds_load_2addr_b32 v[16:17], v20 offset0:100 offset1:125
	;; [unrolled: 1-line block ×4, first 2 shown]
	ds_load_b32 v23, v20 offset:1000
	s_wait_dscnt 0x5
	v_lshrrev_b32_e32 v38, 16, v13
	v_lshrrev_b32_e32 v42, 16, v14
	s_wait_dscnt 0x4
	v_lshrrev_b32_e32 v41, 16, v18
	v_lshrrev_b32_e32 v39, 16, v19
	;; [unrolled: 3-line block ×5, first 2 shown]
	s_wait_dscnt 0x0
	v_bfi_b32 v17, 0xffff, v17, v23
	v_mov_b32_e32 v15, v19
.LBB0_11:
	s_wait_alu 0xfffe
	s_or_b32 exec_lo, exec_lo, s4
	global_wb scope:SCOPE_SE
	s_barrier_signal -1
	s_barrier_wait -1
	global_inv scope:SCOPE_SE
	s_and_saveexec_b32 s4, vcc_lo
	s_cbranch_execz .LBB0_13
; %bb.12:
	v_lshrrev_b32_e32 v54, 16, v17
	v_sub_f16_e32 v45, v14, v23
	v_add_f16_e32 v55, v24, v41
	v_sub_f16_e32 v43, v18, v10
	v_add_f16_e32 v56, v25, v39
	v_add_f16_e32 v57, v54, v42
	v_sub_f16_e32 v44, v15, v9
	v_mul_f16_e32 v61, 0x3abb, v55
	v_add_f16_e32 v58, v27, v40
	v_sub_f16_e32 v62, v42, v54
	v_mul_f16_e32 v60, 0xbbad, v57
	v_mul_f16_e32 v64, 0xb93d, v56
	v_fmamk_f16 v49, v43, 0xb853, v61
	v_sub_f16_e32 v19, v16, v12
	v_add_f16_e32 v47, v23, v14
	v_fmamk_f16 v48, v45, 0x3482, v60
	v_sub_f16_e32 v63, v41, v24
	v_mul_f16_e32 v65, 0xb482, v62
	v_fmamk_f16 v51, v44, 0x3a0c, v64
	v_mul_f16_e32 v68, 0x36a6, v58
	v_add_f16_e32 v50, v38, v48
	v_add_f16_e32 v46, v10, v18
	v_mul_f16_e32 v66, 0x3853, v63
	v_fmamk_f16 v52, v47, 0xbbad, v65
	v_sub_f16_e32 v67, v39, v25
	v_add_f16_e32 v49, v49, v50
	v_fmamk_f16 v53, v19, 0xbb47, v68
	v_mul_f16_e32 v71, 0xb93d, v57
	v_add_f16_e32 v48, v9, v15
	v_fmamk_f16 v50, v46, 0x3abb, v66
	v_add_f16_e32 v51, v51, v49
	v_add_f16_e32 v52, v13, v52
	v_mul_f16_e32 v69, 0xba0c, v67
	v_mul_f16_e32 v74, 0xb08e, v55
	v_add_f16_e32 v59, v28, v29
	v_add_f16_e32 v53, v53, v51
	v_fmamk_f16 v51, v45, 0x3a0c, v71
	v_add_f16_e32 v50, v50, v52
	v_fmamk_f16 v52, v48, 0xb93d, v69
	v_sub_f16_e32 v73, v40, v27
	v_fmamk_f16 v78, v43, 0xbbeb, v74
	v_add_f16_e32 v77, v38, v51
	v_mul_f16_e32 v79, 0x3abb, v56
	v_mul_f16_e32 v70, 0xb08e, v59
	v_sub_f16_e32 v49, v17, v11
	v_add_f16_e32 v52, v52, v50
	v_add_f16_e32 v50, v12, v16
	v_mul_f16_e32 v75, 0x3b47, v73
	v_sub_f16_e32 v76, v29, v28
	v_add_f16_e32 v77, v78, v77
	v_fmamk_f16 v78, v44, 0x3853, v79
	v_mul_f16_e32 v82, 0xbbad, v58
	v_fmamk_f16 v72, v49, 0x3beb, v70
	v_fmamk_f16 v80, v50, 0x36a6, v75
	v_add_f16_e32 v51, v11, v17
	v_mul_f16_e32 v81, 0xbbeb, v76
	v_mul_f16_e32 v83, 0xba0c, v62
	v_add_f16_e32 v77, v78, v77
	v_fmamk_f16 v78, v19, 0x3482, v82
	v_add_f16_e32 v80, v80, v52
	v_fmamk_f16 v84, v51, 0xb08e, v81
	;; [unrolled: 2-line block ×3, first 2 shown]
	v_mul_f16_e32 v85, 0x3beb, v63
	v_add_f16_e32 v77, v78, v77
	v_mul_f16_e32 v78, 0xb08e, v57
	v_add_f16_e32 v53, v84, v80
	v_add_f16_e32 v72, v13, v72
	v_fmamk_f16 v80, v46, 0xb08e, v85
	v_mul_f16_e32 v84, 0xb853, v67
	v_fmamk_f16 v87, v45, 0x3beb, v78
	v_mul_f16_e32 v88, 0xbbad, v55
	v_mul_f16_e32 v89, 0xb482, v73
	v_add_f16_e32 v72, v80, v72
	v_fmamk_f16 v80, v48, 0x3abb, v84
	v_add_f16_e32 v87, v38, v87
	v_fmamk_f16 v90, v43, 0xb482, v88
	v_mul_f16_e32 v91, 0x36a6, v56
	v_mul_f16_e32 v86, 0x36a6, v59
	v_add_f16_e32 v72, v80, v72
	v_fmamk_f16 v80, v50, 0xbbad, v89
	v_mul_f16_e32 v92, 0x3b47, v76
	v_add_f16_e32 v87, v90, v87
	v_fmamk_f16 v90, v44, 0xbb47, v91
	v_mul_f16_e32 v93, 0x3abb, v58
	v_fmamk_f16 v94, v49, 0xbb47, v86
	v_add_f16_e32 v72, v80, v72
	v_fmamk_f16 v80, v51, 0x36a6, v92
	v_add_f16_e32 v87, v90, v87
	v_mul_f16_e32 v90, 0xbbeb, v62
	v_add_f16_e32 v14, v14, v13
	v_fmamk_f16 v95, v19, 0x3853, v93
	v_add_f16_e32 v77, v94, v77
	v_mul_f16_e32 v94, 0x36a6, v57
	v_add_f16_e32 v72, v80, v72
	v_fmamk_f16 v80, v47, 0xb08e, v90
	v_mul_f16_e32 v96, 0x3482, v63
	v_add_f16_e32 v14, v18, v14
	v_add_f16_e32 v87, v95, v87
	v_fmamk_f16 v95, v45, 0x3b47, v94
	v_mul_f16_e32 v97, 0xb93d, v55
	v_add_f16_e32 v80, v13, v80
	v_fmamk_f16 v98, v46, 0xbbad, v96
	v_add_f16_e32 v14, v15, v14
	v_add_f16_e32 v42, v42, v38
	v_mul_f16_e32 v99, 0x3b47, v67
	v_add_f16_e32 v95, v38, v95
	v_fmamk_f16 v100, v43, 0x3a0c, v97
	v_add_f16_e32 v80, v98, v80
	v_mul_f16_e32 v98, 0xbbad, v56
	v_add_f16_e32 v14, v16, v14
	v_add_f16_e32 v41, v41, v42
	v_fmamk_f16 v18, v48, 0x36a6, v99
	v_mul_f16_e32 v101, 0xb853, v73
	v_add_f16_e32 v95, v100, v95
	v_fmamk_f16 v100, v44, 0xb482, v98
	v_mul_f16_e32 v15, 0xb93d, v59
	v_mul_f16_e32 v102, 0xb08e, v58
	v_mul_f16_e32 v16, 0xbb47, v62
	v_add_f16_e32 v14, v17, v14
	v_add_f16_e32 v39, v39, v41
	;; [unrolled: 1-line block ×3, first 2 shown]
	v_fmamk_f16 v80, v50, 0x3abb, v101
	v_add_f16_e32 v95, v100, v95
	v_mul_f16_e32 v100, 0xba0c, v76
	v_fmamk_f16 v103, v19, 0xbbeb, v102
	v_fmamk_f16 v104, v49, 0x3a0c, v15
	v_fmamk_f16 v105, v47, 0x36a6, v16
	v_mul_f16_e32 v106, 0xba0c, v63
	v_add_f16_e32 v11, v11, v14
	v_add_f16_e32 v39, v40, v39
	;; [unrolled: 1-line block ×4, first 2 shown]
	v_fmamk_f16 v103, v51, 0xb93d, v100
	v_add_f16_e32 v87, v104, v87
	v_add_f16_e32 v104, v13, v105
	v_fmamk_f16 v105, v46, 0xb93d, v106
	v_mul_f16_e32 v107, 0x3482, v67
	v_add_f16_e32 v11, v12, v11
	v_add_f16_e32 v29, v29, v39
	;; [unrolled: 1-line block ×4, first 2 shown]
	v_fmamk_f16 v103, v48, 0xbbad, v107
	v_mul_f16_e32 v104, 0x3beb, v73
	v_mul_f16_e32 v14, 0x3abb, v57
	v_add_f16_e32 v28, v28, v29
	v_fmac_f16_e32 v60, 0xb482, v45
	v_add_f16_e32 v9, v9, v11
	v_add_f16_e32 v18, v103, v18
	v_fmamk_f16 v57, v50, 0xb08e, v104
	v_mul_f16_e32 v103, 0x3853, v76
	v_fmamk_f16 v12, v45, 0x3853, v14
	v_mul_f16_e32 v55, 0x36a6, v55
	v_add_f16_e32 v27, v27, v28
	v_add_f16_e32 v28, v38, v60
	v_fmac_f16_e32 v61, 0x3853, v43
	v_add_f16_e32 v9, v10, v9
	v_add_f16_e32 v18, v57, v18
	v_fmamk_f16 v57, v51, 0x3abb, v103
	v_add_f16_e32 v12, v38, v12
	v_fmamk_f16 v105, v43, 0x3b47, v55
	v_mul_f16_e32 v56, 0xb08e, v56
	v_mul_f16_e32 v42, 0xb853, v62
	v_add_f16_e32 v11, v25, v27
	v_add_f16_e32 v25, v61, v28
	v_fmac_f16_e32 v64, 0xba0c, v44
	v_add_f16_e32 v9, v23, v9
	v_fma_f16 v23, v47, 0xbbad, -v65
	v_add_f16_e32 v18, v57, v18
	v_add_f16_e32 v12, v105, v12
	v_fmamk_f16 v57, v44, 0x3beb, v56
	v_mul_f16_e32 v58, 0xb93d, v58
	v_fmamk_f16 v41, v47, 0x3abb, v42
	v_mul_f16_e32 v62, 0xbb47, v63
	v_add_f16_e32 v11, v24, v11
	v_add_f16_e32 v24, v64, v25
	;; [unrolled: 1-line block ×3, first 2 shown]
	v_fma_f16 v25, v46, 0x3abb, -v66
	v_add_f16_e32 v12, v57, v12
	v_fmamk_f16 v57, v19, 0x3a0c, v58
	v_add_f16_e32 v40, v13, v41
	v_fmamk_f16 v41, v46, 0x36a6, v62
	v_mul_f16_e32 v63, 0xbbeb, v67
	v_add_f16_e32 v23, v25, v23
	v_fma_f16 v25, v48, 0xb93d, -v69
	v_add_f16_e32 v12, v57, v12
	v_add_f16_e32 v40, v41, v40
	v_fmamk_f16 v41, v48, 0xb08e, v63
	v_mul_f16_e32 v57, 0xba0c, v73
	v_add_f16_e32 v23, v25, v23
	v_fma_f16 v25, v50, 0x36a6, -v75
	v_mul_f16_e32 v80, 0x3abb, v59
	v_mul_f16_e32 v39, 0xbbad, v59
	v_add_f16_e32 v40, v41, v40
	v_fmamk_f16 v41, v50, 0xb93d, v57
	v_mul_f16_e32 v59, 0xb482, v76
	v_add_f16_e32 v23, v25, v23
	v_fma_f16 v25, v51, 0xb08e, -v81
	v_fmamk_f16 v29, v49, 0x3482, v39
	v_add_f16_e32 v40, v41, v40
	v_fmamk_f16 v41, v51, 0xbbad, v59
	v_fma_f16 v28, v47, 0xb93d, -v83
	v_add_f16_e32 v23, v25, v23
	v_fma_f16 v25, v47, 0xb08e, -v90
	v_add_f16_e32 v12, v29, v12
	v_add_f16_e32 v10, v41, v40
	v_fma_f16 v40, v46, 0xbbad, -v96
	v_add_f16_e32 v28, v13, v28
	v_add_f16_e32 v25, v13, v25
	v_fma_f16 v29, v46, 0xb08e, -v85
	v_fmac_f16_e32 v78, 0xbbeb, v45
	v_fmac_f16_e32 v71, 0xba0c, v45
	;; [unrolled: 1-line block ×3, first 2 shown]
	v_add_f16_e32 v25, v40, v25
	v_fma_f16 v40, v48, 0x36a6, -v99
	v_add_f16_e32 v28, v29, v28
	v_fma_f16 v29, v48, 0x3abb, -v84
	v_fma_f16 v41, v51, 0x36a6, -v92
	v_fmac_f16_e32 v94, 0xbb47, v45
	v_add_f16_e32 v25, v40, v25
	v_fma_f16 v40, v50, 0x3abb, -v101
	v_add_f16_e32 v28, v29, v28
	v_fma_f16 v29, v50, 0xbbad, -v89
	v_fma_f16 v16, v47, 0x36a6, -v16
	v_fmac_f16_e32 v14, 0xb853, v45
	v_add_f16_e32 v25, v40, v25
	v_fma_f16 v40, v51, 0xb93d, -v100
	v_add_f16_e32 v28, v29, v28
	v_add_f16_e32 v29, v38, v78
	;; [unrolled: 1-line block ×3, first 2 shown]
	v_fmac_f16_e32 v74, 0x3beb, v43
	v_add_f16_e32 v25, v40, v25
	v_fma_f16 v40, v47, 0x3abb, -v42
	v_add_f16_e32 v11, v54, v11
	v_add_f16_e32 v29, v88, v29
	v_fmac_f16_e32 v91, 0x3b47, v44
	v_add_f16_e32 v54, v38, v94
	v_fmac_f16_e32 v97, 0xba0c, v43
	v_add_f16_e32 v28, v41, v28
	v_add_f16_e32 v16, v13, v16
	v_fma_f16 v41, v46, 0xb93d, -v106
	v_add_f16_e32 v14, v38, v14
	v_fmac_f16_e32 v55, 0xbb47, v43
	v_add_f16_e32 v13, v13, v40
	v_fma_f16 v38, v46, 0x36a6, -v62
	v_add_f16_e32 v27, v74, v27
	v_fmac_f16_e32 v79, 0xb853, v44
	v_add_f16_e32 v29, v91, v29
	v_fmac_f16_e32 v93, 0xb853, v19
	;; [unrolled: 2-line block ×3, first 2 shown]
	v_add_f16_e32 v16, v41, v16
	v_fma_f16 v40, v48, 0xbbad, -v107
	v_add_f16_e32 v14, v55, v14
	v_fmac_f16_e32 v56, 0xbbeb, v44
	v_add_f16_e32 v13, v38, v13
	v_fma_f16 v38, v48, 0xb08e, -v63
	v_fmac_f16_e32 v68, 0x3b47, v19
	v_add_f16_e32 v27, v79, v27
	v_fmac_f16_e32 v82, 0xb482, v19
	v_add_f16_e32 v29, v93, v29
	;; [unrolled: 2-line block ×4, first 2 shown]
	v_fma_f16 v40, v50, 0xb08e, -v104
	v_add_f16_e32 v14, v56, v14
	v_fmac_f16_e32 v58, 0xba0c, v19
	v_add_f16_e32 v13, v38, v13
	v_fma_f16 v19, v50, 0xb93d, -v57
	v_fmamk_f16 v108, v49, 0xb853, v80
	v_add_f16_e32 v24, v68, v24
	v_fmac_f16_e32 v70, 0xbbeb, v49
	v_add_f16_e32 v27, v82, v27
	v_fmac_f16_e32 v86, 0x3b47, v49
	v_add_f16_e32 v15, v15, v29
	v_add_f16_e32 v29, v102, v54
	v_fmac_f16_e32 v80, 0x3853, v49
	v_add_f16_e32 v16, v40, v16
	v_fma_f16 v38, v51, 0x3abb, -v103
	v_add_f16_e32 v14, v58, v14
	v_fmac_f16_e32 v39, 0xb482, v49
	v_add_f16_e32 v13, v19, v13
	v_fma_f16 v19, v51, 0xbbad, -v59
	v_and_b32_e32 v22, 0xffff, v22
	v_add_f16_e32 v95, v108, v95
	v_add_f16_e32 v24, v70, v24
	;; [unrolled: 1-line block ×7, first 2 shown]
	v_lshlrev_b32_e32 v19, 2, v22
	v_pack_b32_f16 v10, v10, v12
	v_pack_b32_f16 v9, v9, v11
	;; [unrolled: 1-line block ×11, first 2 shown]
	ds_store_2addr_b32 v19, v9, v10 offset1:1
	ds_store_2addr_b32 v19, v12, v11 offset0:2 offset1:3
	ds_store_2addr_b32 v19, v18, v17 offset0:4 offset1:5
	;; [unrolled: 1-line block ×4, first 2 shown]
	ds_store_b32 v19, v13 offset:40
.LBB0_13:
	s_wait_alu 0xfffe
	s_or_b32 exec_lo, exec_lo, s4
	global_wb scope:SCOPE_SE
	s_wait_dscnt 0x0
	s_barrier_signal -1
	s_barrier_wait -1
	global_inv scope:SCOPE_SE
	ds_load_2addr_b32 v[9:10], v20 offset1:55
	ds_load_2addr_b32 v[11:12], v20 offset0:110 offset1:165
	ds_load_b32 v13, v20 offset:880
	global_wb scope:SCOPE_SE
	s_wait_dscnt 0x0
	s_barrier_signal -1
	s_barrier_wait -1
	global_inv scope:SCOPE_SE
	v_lshrrev_b32_e32 v15, 16, v10
	v_lshrrev_b32_e32 v16, 16, v11
	;; [unrolled: 1-line block ×3, first 2 shown]
	v_mul_f16_e32 v19, v36, v10
	v_mul_f16_e32 v22, v37, v11
	v_lshrrev_b32_e32 v18, 16, v13
	v_mul_f16_e32 v23, v35, v12
	v_mul_f16_e32 v25, v36, v15
	v_fma_f16 v15, v0, v15, -v19
	v_mul_f16_e32 v19, v37, v16
	v_fma_f16 v16, v1, v16, -v22
	v_mul_f16_e32 v22, v35, v17
	v_mul_f16_e32 v24, v34, v13
	v_fma_f16 v17, v2, v17, -v23
	v_mul_f16_e32 v23, v34, v18
	v_fmac_f16_e32 v19, v1, v11
	v_fmac_f16_e32 v22, v2, v12
	v_fma_f16 v18, v3, v18, -v24
	v_fmac_f16_e32 v25, v0, v10
	v_fmac_f16_e32 v23, v3, v13
	v_lshrrev_b32_e32 v14, 16, v9
	v_add_f16_e32 v11, v19, v22
	v_sub_f16_e32 v0, v15, v18
	v_add_f16_e32 v10, v9, v25
	v_add_f16_e32 v24, v25, v23
	v_sub_f16_e32 v1, v16, v17
	v_fma_f16 v11, -0.5, v11, v9
	v_sub_f16_e32 v12, v25, v19
	v_sub_f16_e32 v13, v23, v22
	v_fmac_f16_e32 v9, -0.5, v24
	v_add_f16_e32 v10, v10, v19
	v_fmamk_f16 v24, v0, 0xbb9c, v11
	v_fmac_f16_e32 v11, 0x3b9c, v0
	v_add_f16_e32 v12, v12, v13
	v_add_f16_e32 v3, v16, v17
	v_sub_f16_e32 v27, v19, v25
	v_fmac_f16_e32 v24, 0xb8b4, v1
	v_fmac_f16_e32 v11, 0x38b4, v1
	v_sub_f16_e32 v28, v22, v23
	v_add_f16_e32 v10, v10, v22
	v_fmamk_f16 v13, v1, 0x3b9c, v9
	v_fmac_f16_e32 v9, 0xbb9c, v1
	v_fmac_f16_e32 v24, 0x34f2, v12
	v_fmac_f16_e32 v11, 0x34f2, v12
	v_add_f16_e32 v12, v15, v18
	v_add_f16_e32 v2, v14, v15
	v_fma_f16 v3, -0.5, v3, v14
	v_sub_f16_e32 v25, v25, v23
	v_add_f16_e32 v1, v10, v23
	v_fmac_f16_e32 v13, 0xb8b4, v0
	v_add_f16_e32 v10, v27, v28
	v_fmac_f16_e32 v9, 0x38b4, v0
	v_sub_f16_e32 v19, v19, v22
	v_fmac_f16_e32 v14, -0.5, v12
	v_add_f16_e32 v0, v2, v16
	v_fmamk_f16 v2, v25, 0x3b9c, v3
	v_fmac_f16_e32 v13, 0x34f2, v10
	v_fmac_f16_e32 v9, 0x34f2, v10
	v_sub_f16_e32 v10, v15, v16
	v_sub_f16_e32 v12, v18, v17
	v_fmamk_f16 v22, v19, 0xbb9c, v14
	v_sub_f16_e32 v15, v16, v15
	v_sub_f16_e32 v16, v17, v18
	v_fmac_f16_e32 v14, 0x3b9c, v19
	v_fmac_f16_e32 v3, 0xbb9c, v25
	v_add_f16_e32 v0, v0, v17
	v_fmac_f16_e32 v2, 0x38b4, v19
	v_add_f16_e32 v10, v10, v12
	;; [unrolled: 2-line block ×3, first 2 shown]
	v_fmac_f16_e32 v14, 0xb8b4, v25
	v_fmac_f16_e32 v3, 0xb8b4, v19
	v_add_f16_e32 v0, v0, v18
	v_fmac_f16_e32 v2, 0x34f2, v10
	v_fmac_f16_e32 v22, 0x34f2, v12
	;; [unrolled: 1-line block ×4, first 2 shown]
	v_pack_b32_f16 v0, v1, v0
	v_pack_b32_f16 v1, v24, v2
	;; [unrolled: 1-line block ×5, first 2 shown]
	ds_store_2addr_b32 v26, v0, v1 offset1:11
	ds_store_2addr_b32 v26, v2, v9 offset0:22 offset1:33
	ds_store_b32 v26, v3 offset:176
	global_wb scope:SCOPE_SE
	s_wait_dscnt 0x0
	s_barrier_signal -1
	s_barrier_wait -1
	global_inv scope:SCOPE_SE
	ds_load_2addr_b32 v[0:1], v20 offset0:110 offset1:165
	ds_load_2addr_b32 v[2:3], v20 offset1:55
	ds_load_b32 v9, v20 offset:880
	s_wait_dscnt 0x2
	v_lshrrev_b32_e32 v10, 16, v0
	v_lshrrev_b32_e32 v11, 16, v1
	s_wait_dscnt 0x1
	v_lshrrev_b32_e32 v12, 16, v3
	s_wait_dscnt 0x0
	v_lshrrev_b32_e32 v14, 16, v9
	v_mul_f16_e32 v17, v32, v3
	v_mul_f16_e32 v13, v33, v10
	;; [unrolled: 1-line block ×5, first 2 shown]
	s_delay_alu instid0(VALU_DEP_4)
	v_fmac_f16_e32 v13, v5, v0
	v_mul_f16_e32 v0, v33, v0
	v_fmac_f16_e32 v15, v6, v1
	v_fmac_f16_e32 v16, v4, v3
	v_fma_f16 v3, v4, v12, -v17
	v_mul_f16_e32 v1, v30, v1
	v_fma_f16 v0, v5, v10, -v0
	v_mul_f16_e32 v10, v31, v14
	v_add_f16_e32 v4, v13, v15
	v_fma_f16 v5, v7, v14, -v18
	v_add_f16_e32 v12, v2, v16
	v_fma_f16 v1, v6, v11, -v1
	v_fmac_f16_e32 v10, v7, v9
	v_fma_f16 v4, -0.5, v4, v2
	v_sub_f16_e32 v14, v3, v5
	v_add_f16_e32 v7, v12, v13
	v_sub_f16_e32 v12, v0, v1
	v_add_f16_e32 v11, v16, v10
	v_sub_f16_e32 v17, v16, v13
	v_fmamk_f16 v9, v14, 0xbb9c, v4
	v_sub_f16_e32 v18, v10, v15
	v_fmac_f16_e32 v4, 0x3b9c, v14
	v_lshrrev_b32_e32 v6, 16, v2
	v_fmac_f16_e32 v2, -0.5, v11
	v_fmac_f16_e32 v9, 0xb8b4, v12
	v_add_f16_e32 v11, v17, v18
	v_fmac_f16_e32 v4, 0x38b4, v12
	v_add_f16_e32 v7, v7, v15
	v_fmamk_f16 v17, v12, 0x3b9c, v2
	v_fmac_f16_e32 v2, 0xbb9c, v12
	v_fmac_f16_e32 v9, 0x34f2, v11
	;; [unrolled: 1-line block ×3, first 2 shown]
	v_add_f16_e32 v11, v0, v1
	v_fmac_f16_e32 v17, 0xb8b4, v14
	v_sub_f16_e32 v18, v13, v16
	v_sub_f16_e32 v19, v15, v10
	v_add_f16_e32 v12, v6, v3
	v_fmac_f16_e32 v2, 0x38b4, v14
	v_add_f16_e32 v14, v3, v5
	v_add_f16_e32 v7, v7, v10
	v_fma_f16 v11, -0.5, v11, v6
	v_sub_f16_e32 v10, v16, v10
	v_add_f16_e32 v16, v18, v19
	v_add_f16_e32 v12, v12, v0
	v_sub_f16_e32 v13, v13, v15
	v_fmac_f16_e32 v6, -0.5, v14
	v_fmamk_f16 v18, v10, 0x3b9c, v11
	v_sub_f16_e32 v14, v3, v0
	v_sub_f16_e32 v15, v5, v1
	v_fmac_f16_e32 v17, 0x34f2, v16
	v_fmac_f16_e32 v2, 0x34f2, v16
	v_add_f16_e32 v12, v12, v1
	v_fmamk_f16 v16, v13, 0xbb9c, v6
	v_sub_f16_e32 v0, v0, v3
	v_sub_f16_e32 v1, v1, v5
	v_fmac_f16_e32 v6, 0x3b9c, v13
	v_fmac_f16_e32 v11, 0xbb9c, v10
	;; [unrolled: 1-line block ×3, first 2 shown]
	v_add_f16_e32 v3, v14, v15
	v_fmac_f16_e32 v16, 0x38b4, v10
	v_add_f16_e32 v0, v0, v1
	v_fmac_f16_e32 v6, 0xb8b4, v10
	v_fmac_f16_e32 v11, 0xb8b4, v13
	v_add_f16_e32 v1, v12, v5
	v_fmac_f16_e32 v18, 0x34f2, v3
	v_fmac_f16_e32 v16, 0x34f2, v0
	;; [unrolled: 1-line block ×4, first 2 shown]
	v_pack_b32_f16 v0, v7, v1
	v_pack_b32_f16 v1, v9, v18
	;; [unrolled: 1-line block ×5, first 2 shown]
	ds_store_2addr_b32 v20, v0, v1 offset1:55
	ds_store_2addr_b32 v20, v3, v2 offset0:110 offset1:165
	ds_store_b32 v20, v4 offset:880
	global_wb scope:SCOPE_SE
	s_wait_dscnt 0x0
	s_barrier_signal -1
	s_barrier_wait -1
	global_inv scope:SCOPE_SE
	s_and_b32 exec_lo, exec_lo, vcc_lo
	s_cbranch_execz .LBB0_15
; %bb.14:
	s_clause 0x6
	global_load_b32 v0, v20, s[12:13]
	global_load_b32 v1, v20, s[12:13] offset:100
	global_load_b32 v6, v20, s[12:13] offset:200
	;; [unrolled: 1-line block ×6, first 2 shown]
	ds_load_2addr_b32 v[12:13], v20 offset0:25 offset1:50
	ds_load_b32 v25, v20
	ds_load_2addr_b32 v[16:17], v20 offset0:75 offset1:100
	ds_load_2addr_b32 v[18:19], v20 offset0:125 offset1:150
	v_mad_co_u64_u32 v[10:11], null, s2, v8, 0
	v_mad_co_u64_u32 v[14:15], null, s0, v21, 0
	s_mov_b32 s22, 0xdca01dca
	s_mov_b32 s23, 0x3f6dca01
	s_mul_u64 s[20:21], s[0:1], 0x64
	s_clause 0x3
	global_load_b32 v4, v20, s[12:13] offset:700
	global_load_b32 v2, v20, s[12:13] offset:800
	;; [unrolled: 1-line block ×4, first 2 shown]
	s_wait_dscnt 0x3
	v_mad_co_u64_u32 v[22:23], null, s3, v8, v[11:12]
	s_wait_dscnt 0x2
	v_lshrrev_b32_e32 v8, 16, v25
	s_wait_dscnt 0x1
	v_mad_co_u64_u32 v[23:24], null, s1, v21, v[15:16]
	v_lshrrev_b32_e32 v21, 16, v12
	v_lshrrev_b32_e32 v24, 16, v13
	v_lshrrev_b32_e32 v28, 16, v16
	v_mov_b32_e32 v11, v22
	v_lshrrev_b32_e32 v29, 16, v17
	s_wait_dscnt 0x0
	v_lshrrev_b32_e32 v30, 16, v18
	v_mov_b32_e32 v15, v23
	v_lshrrev_b32_e32 v38, 16, v19
	s_wait_loadcnt 0xa
	v_lshrrev_b32_e32 v22, 16, v0
	s_wait_loadcnt 0x9
	;; [unrolled: 2-line block ×5, first 2 shown]
	v_lshrrev_b32_e32 v32, 16, v9
	v_mul_f16_e32 v34, v8, v22
	v_mul_f16_e32 v22, v25, v22
	;; [unrolled: 1-line block ×5, first 2 shown]
	v_fmac_f16_e32 v34, v25, v0
	v_fma_f16 v0, v0, v8, -v22
	v_fmac_f16_e32 v35, v12, v1
	v_fma_f16 v23, v1, v21, -v23
	v_mul_f16_e32 v25, v13, v26
	v_cvt_f32_f16_e32 v22, v34
	v_cvt_f32_f16_e32 v12, v0
	;; [unrolled: 1-line block ×3, first 2 shown]
	v_fmac_f16_e32 v36, v13, v6
	v_cvt_f32_f16_e32 v23, v23
	v_cvt_f64_f32_e32 v[0:1], v22
	v_cvt_f64_f32_e32 v[21:22], v12
	;; [unrolled: 1-line block ×3, first 2 shown]
	v_mul_f16_e32 v8, v28, v31
	v_cvt_f32_f16_e32 v26, v36
	v_fma_f16 v6, v6, v24, -v25
	v_cvt_f64_f32_e32 v[23:24], v23
	v_mul_f16_e32 v31, v16, v31
	v_fmac_f16_e32 v8, v16, v7
	v_cvt_f64_f32_e32 v[25:26], v26
	v_cvt_f32_f16_e32 v6, v6
	s_wait_loadcnt 0x5
	v_lshrrev_b32_e32 v33, 16, v27
	v_mul_f16_e32 v34, v29, v32
	v_mul_f16_e32 v32, v17, v32
	v_cvt_f32_f16_e32 v8, v8
	v_fma_f16 v16, v7, v28, -v31
	v_cvt_f64_f32_e32 v[6:7], v6
	v_mul_f16_e32 v35, v30, v33
	v_mul_f16_e32 v33, v18, v33
	v_fmac_f16_e32 v34, v17, v9
	v_fma_f16 v28, v9, v29, -v32
	v_cvt_f64_f32_e32 v[8:9], v8
	v_cvt_f32_f16_e32 v16, v16
	v_fmac_f16_e32 v35, v18, v27
	v_fma_f16 v18, v27, v30, -v33
	v_cvt_f32_f16_e32 v27, v34
	v_cvt_f32_f16_e32 v29, v28
	v_cvt_f64_f32_e32 v[16:17], v16
	v_cvt_f32_f16_e32 v31, v35
	v_cvt_f32_f16_e32 v18, v18
	v_cvt_f64_f32_e32 v[27:28], v27
	v_cvt_f64_f32_e32 v[29:30], v29
	s_wait_loadcnt 0x4
	v_lshrrev_b32_e32 v39, 16, v37
	v_cvt_f64_f32_e32 v[31:32], v31
	v_cvt_f64_f32_e32 v[33:34], v18
	s_delay_alu instid0(VALU_DEP_3) | instskip(SKIP_3) | instid1(VALU_DEP_4)
	v_mul_f16_e32 v36, v38, v39
	v_mul_f64_e32 v[0:1], s[22:23], v[0:1]
	v_mul_f64_e32 v[21:22], s[22:23], v[21:22]
	v_mul_f16_e32 v39, v19, v39
	v_fmac_f16_e32 v36, v19, v37
	s_delay_alu instid0(VALU_DEP_2) | instskip(NEXT) | instid1(VALU_DEP_2)
	v_fma_f16 v37, v37, v38, -v39
	v_cvt_f32_f16_e32 v35, v36
	s_delay_alu instid0(VALU_DEP_2) | instskip(NEXT) | instid1(VALU_DEP_2)
	v_cvt_f32_f16_e32 v39, v37
	v_cvt_f64_f32_e32 v[35:36], v35
	v_mul_f64_e32 v[6:7], s[22:23], v[6:7]
	v_mul_f64_e32 v[8:9], s[22:23], v[8:9]
	;; [unrolled: 1-line block ×7, first 2 shown]
	v_bfe_u32 v42, v1, 20, 11
	v_bfe_u32 v44, v22, 20, 11
	v_and_or_b32 v0, 0x1ff, v1, v0
	v_and_or_b32 v21, 0x1ff, v22, v21
	v_lshrrev_b32_e32 v41, 8, v1
	v_sub_nc_u32_e32 v65, 0x3f1, v42
	v_add_nc_u32_e32 v42, 0xfffffc10, v42
	v_lshlrev_b64_e32 v[10:11], 2, v[10:11]
	v_sub_nc_u32_e32 v66, 0x3f1, v44
	v_add_nc_u32_e32 v44, 0xfffffc10, v44
	v_lshlrev_b64_e32 v[14:15], 2, v[14:15]
	v_lshrrev_b32_e32 v43, 8, v22
	v_lshrrev_b32_e32 v1, 16, v1
	v_add_co_u32 v18, vcc_lo, s8, v10
	v_add_co_ci_u32_e32 v40, vcc_lo, s9, v11, vcc_lo
	v_mul_f64_e32 v[10:11], s[22:23], v[12:13]
	s_delay_alu instid0(VALU_DEP_3) | instskip(SKIP_1) | instid1(VALU_DEP_3)
	v_add_co_u32 v12, vcc_lo, v18, v14
	s_wait_alu 0xfffd
	v_add_co_ci_u32_e32 v13, vcc_lo, v40, v15, vcc_lo
	v_mul_f64_e32 v[14:15], s[22:23], v[23:24]
	v_mul_f64_e32 v[18:19], s[22:23], v[25:26]
	v_add_co_u32 v23, vcc_lo, v12, s20
	s_wait_alu 0xfffd
	v_add_co_ci_u32_e32 v24, vcc_lo, s21, v13, vcc_lo
	v_and_or_b32 v6, 0x1ff, v7, v6
	s_delay_alu instid0(VALU_DEP_3) | instskip(SKIP_1) | instid1(VALU_DEP_3)
	v_add_co_u32 v25, vcc_lo, v23, s20
	s_wait_alu 0xfffd
	v_add_co_ci_u32_e32 v26, vcc_lo, s21, v24, vcc_lo
	v_and_or_b32 v8, 0x1ff, v9, v8
	s_delay_alu instid0(VALU_DEP_3) | instskip(SKIP_1) | instid1(VALU_DEP_3)
	v_add_co_u32 v37, vcc_lo, v25, s20
	s_wait_alu 0xfffd
	v_add_co_ci_u32_e32 v38, vcc_lo, s21, v26, vcc_lo
	v_cmp_ne_u32_e32 vcc_lo, 0, v0
	v_and_or_b32 v16, 0x1ff, v17, v16
	v_and_or_b32 v27, 0x1ff, v28, v27
	;; [unrolled: 1-line block ×4, first 2 shown]
	s_wait_alu 0xfffd
	v_cndmask_b32_e64 v0, 0, 1, vcc_lo
	v_cmp_ne_u32_e32 vcc_lo, 0, v21
	v_and_or_b32 v33, 0x1ff, v34, v33
	v_lshrrev_b32_e32 v63, 8, v34
	v_bfe_u32 v52, v7, 20, 11
	v_and_or_b32 v0, 0xffe, v41, v0
	s_wait_alu 0xfffd
	v_cndmask_b32_e64 v21, 0, 1, vcc_lo
	v_med3_i32 v41, v65, 0, 13
	v_bfe_u32 v54, v9, 20, 11
	v_lshrrev_b32_e32 v51, 8, v7
	v_lshl_or_b32 v65, v42, 12, v0
	v_and_or_b32 v21, 0xffe, v43, v21
	v_and_or_b32 v10, 0x1ff, v11, v10
	v_lshrrev_b32_e32 v45, 8, v11
	v_bfe_u32 v46, v11, 20, 11
	v_med3_i32 v43, v66, 0, 13
	v_or_b32_e32 v66, 0x1000, v21
	v_and_or_b32 v14, 0x1ff, v15, v14
	v_cmp_ne_u32_e32 vcc_lo, 0, v10
	v_and_or_b32 v18, 0x1ff, v19, v18
	v_lshrrev_b32_e32 v47, 8, v15
	v_bfe_u32 v48, v15, 20, 11
	v_bfe_u32 v50, v19, 20, 11
	s_wait_alu 0xfffd
	v_cndmask_b32_e64 v10, 0, 1, vcc_lo
	v_cmp_ne_u32_e32 vcc_lo, 0, v14
	v_sub_nc_u32_e32 v67, 0x3f1, v46
	v_lshrrev_b32_e32 v49, 8, v19
	v_add_nc_u32_e32 v46, 0xfffffc10, v46
	v_and_or_b32 v10, 0xffe, v45, v10
	s_wait_alu 0xfffd
	v_cndmask_b32_e64 v14, 0, 1, vcc_lo
	v_cmp_ne_u32_e32 vcc_lo, 0, v18
	v_sub_nc_u32_e32 v68, 0x3f1, v48
	v_sub_nc_u32_e32 v69, 0x3f1, v50
	v_med3_i32 v45, v67, 0, 13
	v_and_or_b32 v14, 0xffe, v47, v14
	s_wait_alu 0xfffd
	v_cndmask_b32_e64 v18, 0, 1, vcc_lo
	v_cmp_ne_u32_e32 vcc_lo, 0, v6
	v_lshl_or_b32 v67, v44, 12, v21
	v_lshrrev_b32_e32 v53, 8, v9
	v_bfe_u32 v56, v17, 20, 11
	v_bfe_u32 v58, v28, 20, 11
	s_wait_alu 0xfffd
	v_cndmask_b32_e64 v6, 0, 1, vcc_lo
	v_cmp_ne_u32_e32 vcc_lo, 0, v8
	v_add_nc_u32_e32 v48, 0xfffffc10, v48
	v_sub_nc_u32_e32 v70, 0x3f1, v52
	v_sub_nc_u32_e32 v71, 0x3f1, v54
	v_med3_i32 v47, v68, 0, 13
	s_wait_alu 0xfffd
	v_cndmask_b32_e64 v8, 0, 1, vcc_lo
	v_cmp_ne_u32_e32 vcc_lo, 0, v16
	v_and_or_b32 v18, 0xffe, v49, v18
	v_med3_i32 v49, v69, 0, 13
	v_or_b32_e32 v68, 0x1000, v10
	v_lshl_or_b32 v69, v46, 12, v10
	s_wait_alu 0xfffd
	v_cndmask_b32_e64 v16, 0, 1, vcc_lo
	v_cmp_ne_u32_e32 vcc_lo, 0, v27
	v_lshrrev_b32_e32 v55, 8, v17
	v_lshrrev_b32_e32 v57, 8, v28
	v_bfe_u32 v60, v30, 20, 11
	v_bfe_u32 v62, v32, 20, 11
	s_wait_alu 0xfffd
	v_cndmask_b32_e64 v27, 0, 1, vcc_lo
	v_cmp_ne_u32_e32 vcc_lo, 0, v29
	v_add_nc_u32_e32 v50, 0xfffffc10, v50
	v_sub_nc_u32_e32 v72, 0x3f1, v56
	v_sub_nc_u32_e32 v73, 0x3f1, v58
	v_and_or_b32 v6, 0xffe, v51, v6
	s_wait_alu 0xfffd
	v_cndmask_b32_e64 v29, 0, 1, vcc_lo
	v_cmp_ne_u32_e32 vcc_lo, 0, v31
	v_med3_i32 v51, v70, 0, 13
	v_and_or_b32 v8, 0xffe, v53, v8
	v_med3_i32 v53, v71, 0, 13
	v_or_b32_e32 v70, 0x1000, v14
	s_wait_alu 0xfffd
	v_cndmask_b32_e64 v31, 0, 1, vcc_lo
	v_cmp_ne_u32_e32 vcc_lo, 0, v33
	v_lshl_or_b32 v71, v48, 12, v14
	v_lshrrev_b32_e32 v59, 8, v30
	v_lshrrev_b32_e32 v61, 8, v32
	v_add_nc_u32_e32 v52, 0xfffffc10, v52
	s_wait_alu 0xfffd
	v_cndmask_b32_e64 v33, 0, 1, vcc_lo
	v_cmp_ne_u32_e32 vcc_lo, 0, v0
	v_sub_nc_u32_e32 v74, 0x3f1, v60
	v_sub_nc_u32_e32 v75, 0x3f1, v62
	v_and_or_b32 v16, 0xffe, v55, v16
	v_and_or_b32 v33, 0xffe, v63, v33
	v_or_b32_e32 v63, 0x1000, v0
	s_wait_alu 0xfffd
	v_cndmask_b32_e64 v0, 0, 1, vcc_lo
	v_cmp_ne_u32_e32 vcc_lo, 0, v21
	v_med3_i32 v55, v72, 0, 13
	v_and_or_b32 v27, 0xffe, v57, v27
	v_med3_i32 v57, v73, 0, 13
	v_or_b32_e32 v72, 0x1000, v18
	s_wait_alu 0xfffd
	v_cndmask_b32_e64 v21, 0, 1, vcc_lo
	v_cmp_ne_u32_e32 vcc_lo, 0, v10
	v_lshl_or_b32 v73, v50, 12, v18
	v_add_nc_u32_e32 v54, 0xfffffc10, v54
	v_and_or_b32 v29, 0xffe, v59, v29
	v_med3_i32 v59, v74, 0, 13
	s_wait_alu 0xfffd
	v_cndmask_b32_e64 v10, 0, 1, vcc_lo
	v_cmp_ne_u32_e32 vcc_lo, 0, v14
	v_and_or_b32 v31, 0xffe, v61, v31
	v_med3_i32 v61, v75, 0, 13
	v_or_b32_e32 v74, 0x1000, v6
	v_lshl_or_b32 v75, v52, 12, v6
	s_wait_alu 0xfffd
	v_cndmask_b32_e64 v14, 0, 1, vcc_lo
	v_cmp_ne_u32_e32 vcc_lo, 0, v18
	v_add_nc_u32_e32 v56, 0xfffffc10, v56
	v_or_b32_e32 v77, 0x1000, v8
	v_lshl_or_b32 v78, v54, 12, v8
	v_add_nc_u32_e32 v58, 0xfffffc10, v58
	s_wait_alu 0xfffd
	v_cndmask_b32_e64 v18, 0, 1, vcc_lo
	v_cmp_ne_u32_e32 vcc_lo, 0, v6
	v_or_b32_e32 v79, 0x1000, v16
	v_lshl_or_b32 v80, v56, 12, v16
	v_lshrrev_b32_e32 v88, v41, v63
	v_add_nc_u32_e32 v60, 0xfffffc10, v60
	s_wait_alu 0xfffd
	v_cndmask_b32_e64 v6, 0, 1, vcc_lo
	v_cmp_ne_u32_e32 vcc_lo, 0, v8
	v_or_b32_e32 v81, 0x1000, v27
	v_lshl_or_b32 v82, v58, 12, v27
	v_lshrrev_b32_e32 v89, v43, v66
	v_lshl_or_b32 v14, v14, 9, 0x7c00
	s_wait_alu 0xfffd
	v_cndmask_b32_e64 v8, 0, 1, vcc_lo
	v_cmp_ne_u32_e32 vcc_lo, 0, v16
	v_lshlrev_b32_e32 v41, v41, v88
	v_or_b32_e32 v83, 0x1000, v29
	v_lshl_or_b32 v84, v60, 12, v29
	v_lshl_or_b32 v0, v0, 9, 0x7c00
	s_wait_alu 0xfffd
	v_cndmask_b32_e64 v16, 0, 1, vcc_lo
	v_cmp_ne_u32_e32 vcc_lo, 0, v27
	v_lshrrev_b32_e32 v90, v45, v68
	v_lshlrev_b32_e32 v43, v43, v89
	v_lshrrev_b32_e32 v91, v47, v70
	v_lshl_or_b32 v16, v16, 9, 0x7c00
	s_wait_alu 0xfffd
	v_cndmask_b32_e64 v27, 0, 1, vcc_lo
	v_cmp_ne_u32_e32 vcc_lo, 0, v29
	v_lshlrev_b32_e32 v45, v45, v90
	v_lshl_or_b32 v10, v10, 9, 0x7c00
	v_lshrrev_b32_e32 v92, v49, v72
	v_lshlrev_b32_e32 v47, v47, v91
	s_wait_alu 0xfffd
	v_cndmask_b32_e64 v29, 0, 1, vcc_lo
	v_cmp_ne_u32_e32 vcc_lo, v41, v63
	v_lshrrev_b32_e32 v93, v51, v74
	v_lshl_or_b32 v6, v6, 9, 0x7c00
	v_lshlrev_b32_e32 v49, v49, v92
	v_lshl_or_b32 v18, v18, 9, 0x7c00
	s_wait_alu 0xfffd
	v_cndmask_b32_e64 v41, 0, 1, vcc_lo
	v_cmp_ne_u32_e32 vcc_lo, v43, v66
	v_lshrrev_b32_e32 v94, v53, v77
	v_lshlrev_b32_e32 v51, v51, v93
	v_lshrrev_b32_e32 v95, v55, v79
	v_lshl_or_b32 v8, v8, 9, 0x7c00
	s_wait_alu 0xfffd
	v_cndmask_b32_e64 v43, 0, 1, vcc_lo
	v_cmp_ne_u32_e32 vcc_lo, v45, v68
	v_lshlrev_b32_e32 v53, v53, v94
	v_lshrrev_b32_e32 v96, v57, v81
	v_lshlrev_b32_e32 v55, v55, v95
	v_or_b32_e32 v85, 0x1000, v31
	s_wait_alu 0xfffd
	v_cndmask_b32_e64 v45, 0, 1, vcc_lo
	v_cmp_ne_u32_e32 vcc_lo, v47, v70
	v_lshrrev_b32_e32 v97, v59, v83
	v_lshlrev_b32_e32 v57, v57, v96
	v_lshl_or_b32 v27, v27, 9, 0x7c00
	v_lshrrev_b32_e32 v98, v61, v85
	s_wait_alu 0xfffd
	v_cndmask_b32_e64 v47, 0, 1, vcc_lo
	v_cmp_ne_u32_e32 vcc_lo, v49, v72
	v_lshlrev_b32_e32 v59, v59, v97
	v_or_b32_e32 v41, v88, v41
	v_lshlrev_b32_e32 v61, v61, v98
	v_or_b32_e32 v43, v89, v43
	s_wait_alu 0xfffd
	v_cndmask_b32_e64 v49, 0, 1, vcc_lo
	v_cmp_ne_u32_e32 vcc_lo, v51, v74
	v_or_b32_e32 v45, v90, v45
	v_or_b32_e32 v47, v91, v47
	v_lshl_or_b32 v21, v21, 9, 0x7c00
	v_or_b32_e32 v49, v92, v49
	s_wait_alu 0xfffd
	v_cndmask_b32_e64 v51, 0, 1, vcc_lo
	v_cmp_ne_u32_e32 vcc_lo, v53, v77
	v_lshrrev_b32_e32 v11, 16, v11
	v_lshrrev_b32_e32 v15, 16, v15
	v_lshrrev_b32_e32 v19, 16, v19
	v_or_b32_e32 v51, v93, v51
	s_wait_alu 0xfffd
	v_cndmask_b32_e64 v53, 0, 1, vcc_lo
	v_cmp_ne_u32_e32 vcc_lo, v55, v79
	v_lshrrev_b32_e32 v22, 16, v22
	v_lshrrev_b32_e32 v7, 16, v7
	;; [unrolled: 1-line block ×3, first 2 shown]
	v_or_b32_e32 v53, v94, v53
	s_wait_alu 0xfffd
	v_cndmask_b32_e64 v55, 0, 1, vcc_lo
	v_cmp_ne_u32_e32 vcc_lo, v57, v81
	v_bfe_u32 v64, v34, 20, 11
	v_lshrrev_b32_e32 v17, 16, v17
	v_or_b32_e32 v87, 0x1000, v33
	v_or_b32_e32 v55, v95, v55
	s_wait_alu 0xfffd
	v_cndmask_b32_e64 v57, 0, 1, vcc_lo
	v_cmp_ne_u32_e32 vcc_lo, v59, v83
	v_sub_nc_u32_e32 v76, 0x3f1, v64
	v_mul_f64_e32 v[35:36], s[22:23], v[35:36]
	v_cvt_f64_f32_e32 v[39:40], v39
	v_or_b32_e32 v57, v96, v57
	s_wait_alu 0xfffd
	v_cndmask_b32_e64 v59, 0, 1, vcc_lo
	v_cmp_ne_u32_e32 vcc_lo, v61, v85
	v_lshrrev_b32_e32 v28, 16, v28
	s_delay_alu instid0(VALU_DEP_3) | instskip(SKIP_3) | instid1(VALU_DEP_2)
	v_or_b32_e32 v59, v97, v59
	s_wait_alu 0xfffd
	v_cndmask_b32_e64 v61, 0, 1, vcc_lo
	v_cmp_gt_i32_e32 vcc_lo, 1, v42
	v_or_b32_e32 v61, v98, v61
	s_wait_alu 0xfffd
	v_cndmask_b32_e32 v41, v65, v41, vcc_lo
	v_cmp_gt_i32_e32 vcc_lo, 1, v44
	s_delay_alu instid0(VALU_DEP_2)
	v_and_b32_e32 v63, 7, v41
	s_wait_alu 0xfffd
	v_cndmask_b32_e32 v43, v67, v43, vcc_lo
	v_cmp_gt_i32_e32 vcc_lo, 1, v46
	v_lshrrev_b32_e32 v41, 2, v41
	v_cmp_eq_u32_e64 s0, 3, v63
	s_delay_alu instid0(VALU_DEP_4)
	v_and_b32_e32 v65, 7, v43
	s_wait_alu 0xfffd
	v_cndmask_b32_e32 v45, v69, v45, vcc_lo
	v_cmp_gt_i32_e32 vcc_lo, 1, v48
	v_lshrrev_b32_e32 v43, 2, v43
	v_cmp_lt_i32_e64 s1, 5, v65
	v_cmp_eq_u32_e64 s2, 3, v65
	s_wait_alu 0xfffd
	v_cndmask_b32_e32 v47, v71, v47, vcc_lo
	v_cmp_gt_i32_e32 vcc_lo, 1, v50
	v_and_b32_e32 v66, 7, v45
	v_lshrrev_b32_e32 v45, 2, v45
	s_delay_alu instid0(VALU_DEP_4)
	v_and_b32_e32 v67, 7, v47
	s_wait_alu 0xfffd
	v_cndmask_b32_e32 v49, v73, v49, vcc_lo
	v_cmp_gt_i32_e32 vcc_lo, 1, v52
	v_cmp_lt_i32_e64 s3, 5, v66
	v_cmp_eq_u32_e64 s4, 3, v66
	v_cmp_lt_i32_e64 s5, 5, v67
	v_cmp_eq_u32_e64 s6, 3, v67
	s_wait_alu 0xfffd
	v_cndmask_b32_e32 v51, v75, v51, vcc_lo
	v_cmp_gt_i32_e32 vcc_lo, 1, v54
	v_lshrrev_b32_e32 v47, 2, v47
	s_delay_alu instid0(VALU_DEP_3)
	v_and_b32_e32 v69, 7, v51
	s_wait_alu 0xfffd
	v_cndmask_b32_e32 v53, v78, v53, vcc_lo
	v_cmp_gt_i32_e32 vcc_lo, 1, v56
	v_lshrrev_b32_e32 v51, 2, v51
	v_cmp_lt_i32_e64 s9, 5, v69
	v_cmp_eq_u32_e64 s10, 3, v69
	s_wait_alu 0xfffd
	v_cndmask_b32_e32 v55, v80, v55, vcc_lo
	v_cmp_gt_i32_e32 vcc_lo, 1, v58
	v_add_nc_u32_e32 v62, 0xfffffc10, v62
	s_delay_alu instid0(VALU_DEP_3)
	v_and_b32_e32 v71, 7, v55
	s_wait_alu 0xfffd
	v_cndmask_b32_e32 v57, v82, v57, vcc_lo
	v_cmp_gt_i32_e32 vcc_lo, 1, v60
	v_lshrrev_b32_e32 v55, 2, v55
	v_lshl_or_b32 v86, v62, 12, v31
	v_cmp_lt_i32_e64 s13, 5, v71
	v_cmp_eq_u32_e64 s14, 3, v71
	s_wait_alu 0xfffd
	v_cndmask_b32_e32 v59, v84, v59, vcc_lo
	v_cmp_lt_i32_e32 vcc_lo, 5, v63
	s_delay_alu instid0(VALU_DEP_2)
	v_and_b32_e32 v73, 7, v59
	s_or_b32 vcc_lo, s0, vcc_lo
	v_lshrrev_b32_e32 v59, 2, v59
	s_wait_alu 0xfffe
	v_add_co_ci_u32_e32 v41, vcc_lo, 0, v41, vcc_lo
	s_or_b32 vcc_lo, s2, s1
	v_cmp_lt_i32_e64 s17, 5, v73
	s_wait_alu 0xfffe
	v_add_co_ci_u32_e32 v43, vcc_lo, 0, v43, vcc_lo
	v_and_b32_e32 v68, 7, v49
	s_or_b32 vcc_lo, s4, s3
	v_lshrrev_b32_e32 v49, 2, v49
	s_wait_alu 0xfffe
	v_add_co_ci_u32_e32 v45, vcc_lo, 0, v45, vcc_lo
	v_cmp_lt_i32_e64 s7, 5, v68
	v_cmp_eq_u32_e64 s8, 3, v68
	s_or_b32 vcc_lo, s6, s5
	v_cmp_eq_u32_e64 s18, 3, v73
	s_wait_alu 0xfffe
	v_add_co_ci_u32_e32 v47, vcc_lo, 0, v47, vcc_lo
	v_and_b32_e32 v70, 7, v53
	s_or_b32 vcc_lo, s8, s7
	v_lshrrev_b32_e32 v53, 2, v53
	s_wait_alu 0xfffe
	v_add_co_ci_u32_e32 v49, vcc_lo, 0, v49, vcc_lo
	s_or_b32 vcc_lo, s10, s9
	v_cmp_lt_i32_e64 s11, 5, v70
	v_cmp_eq_u32_e64 s12, 3, v70
	s_wait_alu 0xfffe
	v_add_co_ci_u32_e32 v51, vcc_lo, 0, v51, vcc_lo
	v_and_b32_e32 v72, 7, v57
	v_lshrrev_b32_e32 v57, 2, v57
	s_or_b32 vcc_lo, s12, s11
	s_wait_alu 0xfffe
	v_add_co_ci_u32_e32 v53, vcc_lo, 0, v53, vcc_lo
	v_cmp_lt_i32_e64 s15, 5, v72
	v_cmp_eq_u32_e64 s16, 3, v72
	s_or_b32 vcc_lo, s14, s13
	s_wait_alu 0xfffe
	v_add_co_ci_u32_e32 v55, vcc_lo, 0, v55, vcc_lo
	s_delay_alu instid0(VALU_DEP_2)
	s_or_b32 vcc_lo, s16, s15
	s_wait_alu 0xfffe
	v_add_co_ci_u32_e32 v57, vcc_lo, 0, v57, vcc_lo
	s_or_b32 vcc_lo, s18, s17
	s_wait_alu 0xfffe
	v_add_co_ci_u32_e32 v59, vcc_lo, 0, v59, vcc_lo
	v_cmp_gt_i32_e32 vcc_lo, 31, v42
	s_wait_alu 0xfffd
	v_cndmask_b32_e32 v41, 0x7c00, v41, vcc_lo
	v_cmp_gt_i32_e32 vcc_lo, 31, v44
	s_wait_alu 0xfffd
	v_cndmask_b32_e32 v43, 0x7c00, v43, vcc_lo
	;; [unrolled: 3-line block ×9, first 2 shown]
	v_cmp_eq_u32_e32 vcc_lo, 0x40f, v42
	s_wait_alu 0xfffd
	v_cndmask_b32_e32 v0, v41, v0, vcc_lo
	v_cmp_eq_u32_e32 vcc_lo, 0x40f, v44
	s_delay_alu instid0(VALU_DEP_2) | instskip(SKIP_3) | instid1(VALU_DEP_3)
	v_and_or_b32 v0, 0x8000, v1, v0
	s_wait_alu 0xfffd
	v_cndmask_b32_e32 v21, v43, v21, vcc_lo
	v_cmp_eq_u32_e32 vcc_lo, 0x40f, v46
	v_and_b32_e32 v0, 0xffff, v0
	s_delay_alu instid0(VALU_DEP_3)
	v_and_or_b32 v1, 0x8000, v22, v21
	s_wait_alu 0xfffd
	v_cndmask_b32_e32 v10, v45, v10, vcc_lo
	v_cmp_eq_u32_e32 vcc_lo, 0x40f, v48
	v_bfe_u32 v21, v36, 20, 11
	v_lshl_or_b32 v0, v1, 16, v0
	s_delay_alu instid0(VALU_DEP_4) | instskip(SKIP_3) | instid1(VALU_DEP_2)
	v_and_or_b32 v10, 0x8000, v11, v10
	s_wait_alu 0xfffd
	v_cndmask_b32_e32 v14, v47, v14, vcc_lo
	v_cmp_eq_u32_e32 vcc_lo, 0x40f, v50
	v_and_or_b32 v11, 0x8000, v15, v14
	s_wait_alu 0xfffd
	v_cndmask_b32_e32 v18, v49, v18, vcc_lo
	v_cmp_eq_u32_e32 vcc_lo, 0x40f, v52
	s_delay_alu instid0(VALU_DEP_2) | instskip(SKIP_4) | instid1(VALU_DEP_3)
	v_and_or_b32 v14, 0x8000, v19, v18
	s_wait_alu 0xfffd
	v_cndmask_b32_e32 v6, v51, v6, vcc_lo
	v_cmp_eq_u32_e32 vcc_lo, 0x40f, v54
	v_lshrrev_b32_e32 v19, 8, v36
	v_and_or_b32 v6, 0x8000, v7, v6
	s_wait_alu 0xfffd
	v_cndmask_b32_e32 v8, v53, v8, vcc_lo
	v_cmp_eq_u32_e32 vcc_lo, 0x40f, v56
	s_delay_alu instid0(VALU_DEP_2)
	v_and_or_b32 v7, 0x8000, v9, v8
	v_and_b32_e32 v8, 0xffff, v10
	s_wait_alu 0xfffd
	v_dual_cndmask_b32 v16, v55, v16 :: v_dual_and_b32 v9, 0xffff, v14
	v_cmp_eq_u32_e32 vcc_lo, 0x40f, v58
	v_and_b32_e32 v7, 0xffff, v7
	v_lshl_or_b32 v1, v11, 16, v8
	s_delay_alu instid0(VALU_DEP_4)
	v_lshl_or_b32 v6, v6, 16, v9
	v_and_or_b32 v10, 0x8000, v17, v16
	s_wait_alu 0xfffd
	v_cndmask_b32_e32 v8, v57, v27, vcc_lo
	s_clause 0x2
	global_store_b32 v[12:13], v0, off
	global_store_b32 v[23:24], v1, off
	global_store_b32 v[25:26], v6, off
	v_med3_i32 v0, v76, 0, 13
	v_cmp_gt_i32_e32 vcc_lo, 31, v60
	v_lshl_or_b32 v7, v10, 16, v7
	v_lshl_or_b32 v6, v29, 9, 0x7c00
	v_lshrrev_b32_e32 v11, 16, v30
	v_lshrrev_b32_e32 v10, v0, v87
	s_wait_alu 0xfffd
	v_cndmask_b32_e32 v1, 0x7c00, v59, vcc_lo
	v_cmp_gt_i32_e32 vcc_lo, 1, v62
	global_store_b32 v[37:38], v7, off
	v_and_or_b32 v7, 0x8000, v28, v8
	v_lshlrev_b32_e32 v13, v0, v10
	s_wait_loadcnt 0x3
	v_lshrrev_b32_e32 v16, 16, v4
	s_wait_alu 0xfffd
	v_cndmask_b32_e32 v9, v86, v61, vcc_lo
	v_cmp_eq_u32_e32 vcc_lo, 0x40f, v60
	v_lshrrev_b32_e32 v23, 16, v32
	v_cmp_ne_u32_e64 s0, v13, v87
	s_wait_loadcnt 0x2
	v_lshrrev_b32_e32 v25, 16, v2
	v_and_b32_e32 v12, 7, v9
	s_wait_alu 0xfffd
	v_cndmask_b32_e32 v6, v1, v6, vcc_lo
	ds_load_2addr_b32 v[0:1], v20 offset0:175 offset1:200
	v_cmp_lt_i32_e32 vcc_lo, 5, v12
	v_and_or_b32 v14, 0x8000, v11, v6
	s_wait_alu 0xf1ff
	v_cndmask_b32_e64 v6, 0, 1, s0
	v_add_nc_u32_e32 v11, 0xfffffc10, v64
	v_cmp_eq_u32_e64 s0, 3, v12
	s_delay_alu instid0(VALU_DEP_3) | instskip(NEXT) | instid1(VALU_DEP_3)
	v_or_b32_e32 v6, v10, v6
	v_lshl_or_b32 v8, v11, 12, v33
	v_and_b32_e32 v12, 0xffff, v7
	v_lshrrev_b32_e32 v7, 2, v9
	s_or_b32 vcc_lo, s0, vcc_lo
	s_wait_alu 0xfffe
	s_delay_alu instid0(VALU_DEP_1)
	v_add_co_ci_u32_e32 v9, vcc_lo, 0, v7, vcc_lo
	v_cmp_ne_u32_e32 vcc_lo, 0, v31
	s_wait_dscnt 0x0
	v_lshrrev_b32_e32 v15, 16, v0
	s_wait_alu 0xfffd
	v_cndmask_b32_e64 v10, 0, 1, vcc_lo
	v_cmp_gt_i32_e32 vcc_lo, 1, v11
	s_delay_alu instid0(VALU_DEP_3) | instskip(NEXT) | instid1(VALU_DEP_3)
	v_mul_f16_e32 v17, v15, v16
	v_lshl_or_b32 v10, v10, 9, 0x7c00
	s_wait_alu 0xfffd
	v_cndmask_b32_e32 v13, v8, v6, vcc_lo
	v_and_or_b32 v8, 0x1ff, v36, v35
	v_cmp_gt_i32_e32 vcc_lo, 31, v62
	v_mul_f64_e32 v[6:7], s[22:23], v[39:40]
	v_fmac_f16_e32 v17, v0, v4
	v_and_b32_e32 v18, 7, v13
	v_lshrrev_b32_e32 v13, 2, v13
	s_wait_alu 0xfffd
	v_cndmask_b32_e32 v9, 0x7c00, v9, vcc_lo
	v_cmp_ne_u32_e32 vcc_lo, 0, v8
	v_mul_f16_e32 v0, v0, v16
	v_cmp_eq_u32_e64 s0, 3, v18
	s_wait_alu 0xfffd
	v_cndmask_b32_e64 v8, 0, 1, vcc_lo
	v_cmp_eq_u32_e32 vcc_lo, 0x40f, v62
	v_fma_f16 v0, v4, v15, -v0
	s_wait_alu 0xfffd
	v_cndmask_b32_e32 v10, v9, v10, vcc_lo
	v_cvt_f32_f16_e32 v9, v17
	v_cmp_lt_i32_e32 vcc_lo, 5, v18
	v_and_or_b32 v17, 0xffe, v19, v8
	v_sub_nc_u32_e32 v19, 0x3f1, v21
	v_and_or_b32 v16, 0x8000, v23, v10
	v_cvt_f64_f32_e32 v[8:9], v9
	s_or_b32 vcc_lo, s0, vcc_lo
	v_or_b32_e32 v18, 0x1000, v17
	s_wait_alu 0xfffe
	v_add_co_ci_u32_e32 v13, vcc_lo, 0, v13, vcc_lo
	v_med3_i32 v19, v19, 0, 13
	v_cmp_ne_u32_e32 vcc_lo, 0, v33
	v_cvt_f32_f16_e32 v0, v0
	s_delay_alu instid0(VALU_DEP_3) | instskip(SKIP_3) | instid1(VALU_DEP_3)
	v_lshrrev_b32_e32 v24, v19, v18
	s_wait_alu 0xfffd
	v_cndmask_b32_e64 v22, 0, 1, vcc_lo
	v_cmp_gt_i32_e32 vcc_lo, 31, v11
	v_lshlrev_b32_e32 v10, v19, v24
	s_delay_alu instid0(VALU_DEP_3)
	v_lshl_or_b32 v22, v22, 9, 0x7c00
	s_wait_alu 0xfffd
	v_cndmask_b32_e32 v13, 0x7c00, v13, vcc_lo
	v_cmp_eq_u32_e32 vcc_lo, 0x40f, v11
	v_and_or_b32 v4, 0x1ff, v7, v6
	v_lshrrev_b32_e32 v15, 8, v7
	v_bfe_u32 v19, v7, 20, 11
	s_wait_alu 0xfffd
	v_cndmask_b32_e32 v13, v13, v22, vcc_lo
	v_cmp_ne_u32_e32 vcc_lo, v10, v18
	v_add_nc_u32_e32 v18, 0xfffffc10, v21
	v_cvt_f64_f32_e32 v[10:11], v0
	v_sub_nc_u32_e32 v21, 0x3f1, v19
	v_lshl_or_b32 v22, v14, 16, v12
	s_wait_alu 0xfffd
	v_cndmask_b32_e64 v6, 0, 1, vcc_lo
	v_cmp_ne_u32_e32 vcc_lo, 0, v4
	v_lshl_or_b32 v0, v18, 12, v17
	v_med3_i32 v21, v21, 0, 13
	v_add_nc_u32_e32 v19, 0xfffffc10, v19
	v_or_b32_e32 v6, v24, v6
	s_wait_alu 0xfffd
	v_cndmask_b32_e64 v4, 0, 1, vcc_lo
	v_cmp_gt_i32_e32 vcc_lo, 1, v18
	v_mul_f64_e32 v[8:9], s[22:23], v[8:9]
	s_delay_alu instid0(VALU_DEP_3)
	v_and_or_b32 v4, 0xffe, v15, v4
	v_lshrrev_b32_e32 v15, 16, v34
	s_wait_alu 0xfffd
	v_cndmask_b32_e32 v0, v0, v6, vcc_lo
	v_add_co_u32 v12, vcc_lo, v37, s20
	v_or_b32_e32 v6, 0x1000, v4
	v_and_or_b32 v14, 0x8000, v15, v13
	v_and_b32_e32 v15, 0xffff, v16
	v_and_b32_e32 v16, 7, v0
	s_wait_alu 0xfffd
	v_add_co_ci_u32_e32 v13, vcc_lo, s21, v38, vcc_lo
	v_lshrrev_b32_e32 v23, v21, v6
	v_lshl_or_b32 v24, v14, 16, v15
	v_cmp_lt_i32_e32 vcc_lo, 5, v16
	v_cmp_eq_u32_e64 s0, 3, v16
	v_lshrrev_b32_e32 v0, 2, v0
	v_lshlrev_b32_e32 v14, v21, v23
	v_lshrrev_b32_e32 v21, 16, v1
	v_lshl_or_b32 v15, v19, 12, v4
	s_or_b32 vcc_lo, s0, vcc_lo
	s_delay_alu instid0(VALU_DEP_3) | instskip(NEXT) | instid1(VALU_DEP_3)
	v_cmp_ne_u32_e64 s1, v14, v6
	v_mul_f16_e32 v14, v21, v25
	s_wait_alu 0xfffe
	v_add_co_ci_u32_e32 v0, vcc_lo, 0, v0, vcc_lo
	v_cmp_ne_u32_e32 vcc_lo, 0, v17
	s_wait_alu 0xf1ff
	v_cndmask_b32_e64 v6, 0, 1, s1
	v_fmac_f16_e32 v14, v1, v2
	v_mul_f64_e32 v[10:11], s[22:23], v[10:11]
	s_wait_alu 0xfffd
	v_cndmask_b32_e64 v16, 0, 1, vcc_lo
	v_or_b32_e32 v6, v23, v6
	v_cmp_gt_i32_e32 vcc_lo, 1, v19
	v_cvt_f32_f16_e32 v14, v14
	s_delay_alu instid0(VALU_DEP_4)
	v_lshl_or_b32 v23, v16, 9, 0x7c00
	v_and_or_b32 v8, 0x1ff, v9, v8
	s_wait_alu 0xfffd
	v_cndmask_b32_e32 v6, v15, v6, vcc_lo
	v_cmp_gt_i32_e32 vcc_lo, 31, v18
	v_cvt_f64_f32_e32 v[14:15], v14
	v_cmp_ne_u32_e64 s0, 0, v8
	s_delay_alu instid0(VALU_DEP_4)
	v_and_b32_e32 v26, 7, v6
	s_wait_alu 0xfffd
	v_cndmask_b32_e32 v0, 0x7c00, v0, vcc_lo
	v_add_co_u32 v16, vcc_lo, v12, s20
	s_wait_alu 0xfffd
	v_add_co_ci_u32_e32 v17, vcc_lo, s21, v13, vcc_lo
	v_cmp_eq_u32_e32 vcc_lo, 0x40f, v18
	s_wait_alu 0xf1ff
	v_cndmask_b32_e64 v8, 0, 1, s0
	v_cmp_eq_u32_e64 s0, 3, v26
	v_lshrrev_b32_e32 v6, 2, v6
	v_lshrrev_b32_e32 v18, 8, v9
	s_wait_alu 0xfffd
	v_cndmask_b32_e32 v0, v0, v23, vcc_lo
	v_cmp_lt_i32_e32 vcc_lo, 5, v26
	v_bfe_u32 v23, v9, 20, 11
	v_lshrrev_b32_e32 v26, 16, v36
	v_and_or_b32 v8, 0xffe, v18, v8
	v_lshrrev_b32_e32 v9, 16, v9
	s_or_b32 vcc_lo, s0, vcc_lo
	v_sub_nc_u32_e32 v18, 0x3f1, v23
	s_wait_alu 0xfffe
	v_add_co_ci_u32_e32 v6, vcc_lo, 0, v6, vcc_lo
	v_cmp_ne_u32_e32 vcc_lo, 0, v4
	v_or_b32_e32 v27, 0x1000, v8
	v_med3_i32 v18, v18, 0, 13
	v_and_or_b32 v26, 0x8000, v26, v0
	v_and_or_b32 v0, 0x1ff, v11, v10
	s_wait_alu 0xfffd
	v_cndmask_b32_e64 v4, 0, 1, vcc_lo
	v_cmp_gt_i32_e32 vcc_lo, 31, v19
	v_lshrrev_b32_e32 v28, v18, v27
	v_lshrrev_b32_e32 v10, 16, v7
	v_mul_f16_e32 v7, v1, v25
	v_lshl_or_b32 v4, v4, 9, 0x7c00
	s_wait_alu 0xfffd
	v_cndmask_b32_e32 v6, 0x7c00, v6, vcc_lo
	v_cmp_eq_u32_e32 vcc_lo, 0x40f, v19
	v_lshrrev_b32_e32 v19, 8, v11
	v_bfe_u32 v25, v11, 20, 11
	v_fma_f16 v2, v2, v21, -v7
	s_wait_alu 0xfffd
	v_dual_cndmask_b32 v4, v6, v4 :: v_dual_add_nc_u32 v21, 0xfffffc10, v23
	v_lshlrev_b32_e32 v6, v18, v28
	v_cmp_ne_u32_e32 vcc_lo, 0, v0
	v_mul_f64_e32 v[0:1], s[22:23], v[14:15]
	v_sub_nc_u32_e32 v15, 0x3f1, v25
	v_cvt_f32_f16_e32 v2, v2
	v_cmp_eq_u32_e64 s1, 0x40f, v21
	s_wait_alu 0xfffd
	v_cndmask_b32_e64 v18, 0, 1, vcc_lo
	v_cmp_ne_u32_e32 vcc_lo, v6, v27
	ds_load_2addr_b32 v[6:7], v20 offset0:225 offset1:250
	v_lshl_or_b32 v20, v21, 12, v8
	v_med3_i32 v27, v15, 0, 13
	v_and_or_b32 v18, 0xffe, v19, v18
	s_wait_alu 0xfffd
	v_cndmask_b32_e64 v14, 0, 1, vcc_lo
	v_cmp_gt_i32_e32 vcc_lo, 1, v21
	global_store_b32 v[12:13], v22, off
	global_store_b32 v[16:17], v24, off
	s_wait_loadcnt 0x1
	v_lshrrev_b32_e32 v24, 16, v3
	v_or_b32_e32 v23, 0x1000, v18
	v_or_b32_e32 v19, v28, v14
	v_cvt_f64_f32_e32 v[14:15], v2
	v_and_or_b32 v2, 0x8000, v10, v4
	v_and_b32_e32 v4, 0xffff, v26
	v_lshrrev_b32_e32 v11, 16, v11
	s_wait_alu 0xfffd
	v_cndmask_b32_e32 v10, v20, v19, vcc_lo
	v_lshrrev_b32_e32 v19, v27, v23
	v_add_co_u32 v12, vcc_lo, v16, s20
	v_lshl_or_b32 v20, v2, 16, v4
	s_delay_alu instid0(VALU_DEP_4) | instskip(NEXT) | instid1(VALU_DEP_4)
	v_and_b32_e32 v2, 7, v10
	v_lshlrev_b32_e32 v4, v27, v19
	s_wait_dscnt 0x0
	v_lshrrev_b32_e32 v22, 16, v6
	s_wait_alu 0xfffd
	v_add_co_ci_u32_e32 v13, vcc_lo, s21, v17, vcc_lo
	v_cmp_lt_i32_e32 vcc_lo, 5, v2
	v_cmp_ne_u32_e64 s0, v4, v23
	v_add_nc_u32_e32 v23, 0xfffffc10, v25
	v_mul_f16_e32 v16, v22, v24
	s_wait_alu 0xf1ff
	s_delay_alu instid0(VALU_DEP_3)
	v_cndmask_b32_e64 v4, 0, 1, s0
	v_cmp_eq_u32_e64 s0, 3, v2
	v_lshrrev_b32_e32 v2, 2, v10
	v_lshl_or_b32 v10, v23, 12, v18
	v_fmac_f16_e32 v16, v6, v3
	v_or_b32_e32 v4, v19, v4
	s_or_b32 vcc_lo, s0, vcc_lo
	v_and_or_b32 v0, 0x1ff, v1, v0
	s_wait_alu 0xfffe
	v_add_co_ci_u32_e32 v2, vcc_lo, 0, v2, vcc_lo
	v_cmp_gt_i32_e32 vcc_lo, 1, v23
	v_cvt_f32_f16_e32 v16, v16
	v_bfe_u32 v19, v1, 20, 11
	v_mul_f16_e32 v6, v6, v24
	s_wait_alu 0xfffd
	v_cndmask_b32_e32 v4, v10, v4, vcc_lo
	v_cmp_ne_u32_e32 vcc_lo, 0, v0
	v_cvt_f64_f32_e32 v[16:17], v16
	v_lshrrev_b32_e32 v10, 8, v1
	v_mul_f64_e32 v[14:15], s[22:23], v[14:15]
	v_fma_f16 v3, v3, v22, -v6
	s_wait_alu 0xfffd
	v_cndmask_b32_e64 v0, 0, 1, vcc_lo
	v_cmp_ne_u32_e32 vcc_lo, 0, v8
	s_wait_loadcnt 0x0
	v_lshrrev_b32_e32 v22, 16, v5
	v_cvt_f32_f16_e32 v3, v3
	v_and_or_b32 v0, 0xffe, v10, v0
	s_wait_alu 0xfffd
	v_cndmask_b32_e64 v8, 0, 1, vcc_lo
	v_cmp_gt_i32_e32 vcc_lo, 31, v21
	v_and_b32_e32 v25, 7, v4
	v_sub_nc_u32_e32 v10, 0x3f1, v19
	v_lshrrev_b32_e32 v4, 2, v4
	v_lshl_or_b32 v8, v8, 9, 0x7c00
	s_wait_alu 0xfffd
	v_cndmask_b32_e32 v2, 0x7c00, v2, vcc_lo
	v_cmp_lt_i32_e32 vcc_lo, 5, v25
	v_cmp_eq_u32_e64 s0, 3, v25
	v_or_b32_e32 v26, 0x1000, v0
	v_med3_i32 v10, v10, 0, 13
	v_cndmask_b32_e64 v2, v2, v8, s1
	v_add_nc_u32_e32 v19, 0xfffffc10, v19
	s_or_b32 vcc_lo, s0, vcc_lo
	s_wait_alu 0xfffe
	v_add_co_ci_u32_e32 v4, vcc_lo, 0, v4, vcc_lo
	v_lshrrev_b32_e32 v8, v10, v26
	v_cmp_ne_u32_e32 vcc_lo, 0, v18
	v_and_or_b32 v21, 0x8000, v9, v2
	s_delay_alu instid0(VALU_DEP_3) | instskip(SKIP_3) | instid1(VALU_DEP_2)
	v_lshlrev_b32_e32 v10, v10, v8
	s_wait_alu 0xfffd
	v_cndmask_b32_e64 v18, 0, 1, vcc_lo
	v_cmp_gt_i32_e32 vcc_lo, 31, v23
	v_lshl_or_b32 v18, v18, 9, 0x7c00
	s_wait_alu 0xfffd
	v_cndmask_b32_e32 v4, 0x7c00, v4, vcc_lo
	v_cmp_ne_u32_e32 vcc_lo, v10, v26
	v_and_or_b32 v14, 0x1ff, v15, v14
	s_wait_alu 0xfffd
	v_cndmask_b32_e64 v10, 0, 1, vcc_lo
	v_cmp_eq_u32_e32 vcc_lo, 0x40f, v23
	s_wait_alu 0xfffd
	v_cndmask_b32_e32 v2, v4, v18, vcc_lo
	s_delay_alu instid0(VALU_DEP_3)
	v_or_b32_e32 v4, v8, v10
	v_mul_f64_e32 v[8:9], s[22:23], v[16:17]
	v_lshl_or_b32 v10, v19, 12, v0
	v_cmp_gt_i32_e32 vcc_lo, 1, v19
	v_and_or_b32 v11, 0x8000, v11, v2
	v_cvt_f64_f32_e32 v[2:3], v3
	v_lshrrev_b32_e32 v18, 16, v7
	s_wait_alu 0xfffd
	v_cndmask_b32_e32 v4, v10, v4, vcc_lo
	v_cmp_ne_u32_e32 vcc_lo, 0, v14
	v_lshrrev_b32_e32 v10, 8, v15
	v_bfe_u32 v14, v15, 20, 11
	v_mul_f16_e32 v23, v18, v22
	v_and_b32_e32 v16, 7, v4
	s_wait_alu 0xfffd
	v_cndmask_b32_e64 v6, 0, 1, vcc_lo
	v_lshrrev_b32_e32 v4, 2, v4
	v_fmac_f16_e32 v23, v7, v5
	v_cmp_lt_i32_e32 vcc_lo, 5, v16
	s_delay_alu instid0(VALU_DEP_4)
	v_and_or_b32 v17, 0xffe, v10, v6
	v_sub_nc_u32_e32 v6, 0x3f1, v14
	v_cmp_eq_u32_e64 s0, 3, v16
	v_and_b32_e32 v10, 0xffff, v21
	v_mul_f16_e32 v7, v7, v22
	v_or_b32_e32 v21, 0x1000, v17
	v_med3_i32 v6, v6, 0, 13
	s_or_b32 vcc_lo, s0, vcc_lo
	v_lshl_or_b32 v16, v11, 16, v10
	s_wait_alu 0xfffe
	v_add_co_ci_u32_e32 v4, vcc_lo, 0, v4, vcc_lo
	v_lshrrev_b32_e32 v24, v6, v21
	v_cmp_ne_u32_e32 vcc_lo, 0, v0
	v_cvt_f32_f16_e32 v10, v23
	v_fma_f16 v5, v5, v18, -v7
	v_lshrrev_b32_e32 v22, 16, v1
	v_lshlrev_b32_e32 v6, v6, v24
	s_wait_alu 0xfffd
	v_cndmask_b32_e64 v0, 0, 1, vcc_lo
	v_cmp_gt_i32_e32 vcc_lo, 31, v19
	v_cvt_f64_f32_e32 v[10:11], v10
	v_cvt_f32_f16_e32 v5, v5
	s_delay_alu instid0(VALU_DEP_4)
	v_lshl_or_b32 v0, v0, 9, 0x7c00
	s_wait_alu 0xfffd
	v_cndmask_b32_e32 v23, 0x7c00, v4, vcc_lo
	v_and_or_b32 v4, 0x1ff, v9, v8
	v_cmp_ne_u32_e32 vcc_lo, v6, v21
	v_add_nc_u32_e32 v8, 0xfffffc10, v14
	v_lshrrev_b32_e32 v14, 8, v9
	v_bfe_u32 v21, v9, 20, 11
	v_mul_f64_e32 v[2:3], s[22:23], v[2:3]
	s_wait_alu 0xfffd
	v_cndmask_b32_e64 v6, 0, 1, vcc_lo
	v_cmp_ne_u32_e32 vcc_lo, 0, v4
	v_lshl_or_b32 v7, v8, 12, v17
	v_lshrrev_b32_e32 v9, 16, v9
	s_delay_alu instid0(VALU_DEP_4) | instskip(SKIP_3) | instid1(VALU_DEP_2)
	v_or_b32_e32 v6, v24, v6
	s_wait_alu 0xfffd
	v_cndmask_b32_e64 v4, 0, 1, vcc_lo
	v_cmp_gt_i32_e32 vcc_lo, 1, v8
	v_and_or_b32 v14, 0xffe, v14, v4
	v_sub_nc_u32_e32 v4, 0x3f1, v21
	s_wait_alu 0xfffd
	v_cndmask_b32_e32 v6, v7, v6, vcc_lo
	v_cmp_eq_u32_e32 vcc_lo, 0x40f, v19
	v_add_nc_u32_e32 v21, 0xfffffc10, v21
	v_or_b32_e32 v7, 0x1000, v14
	v_med3_i32 v18, v4, 0, 13
	v_cvt_f64_f32_e32 v[4:5], v5
	s_wait_alu 0xfffd
	v_cndmask_b32_e32 v19, v23, v0, vcc_lo
	v_and_b32_e32 v23, 7, v6
	v_add_co_u32 v0, vcc_lo, v12, s20
	v_lshrrev_b32_e32 v24, v18, v7
	s_wait_alu 0xfffd
	v_add_co_ci_u32_e32 v1, vcc_lo, s21, v13, vcc_lo
	v_cmp_lt_i32_e32 vcc_lo, 5, v23
	v_cmp_eq_u32_e64 s0, 3, v23
	v_lshlrev_b32_e32 v18, v18, v24
	v_and_or_b32 v19, 0x8000, v22, v19
	v_lshrrev_b32_e32 v22, 2, v6
	s_delay_alu instid0(VALU_DEP_4) | instskip(NEXT) | instid1(VALU_DEP_3)
	s_or_b32 vcc_lo, s0, vcc_lo
	v_cmp_ne_u32_e64 s1, v18, v7
	v_mul_f64_e32 v[6:7], s[22:23], v[10:11]
	s_wait_alu 0xfffe
	v_add_co_ci_u32_e32 v10, vcc_lo, 0, v22, vcc_lo
	v_cmp_ne_u32_e32 vcc_lo, 0, v17
	s_wait_alu 0xf1ff
	v_cndmask_b32_e64 v18, 0, 1, s1
	v_and_or_b32 v2, 0x1ff, v3, v2
	s_wait_alu 0xfffd
	v_cndmask_b32_e64 v11, 0, 1, vcc_lo
	v_cmp_gt_i32_e32 vcc_lo, 31, v8
	v_or_b32_e32 v17, v24, v18
	v_lshl_or_b32 v18, v21, 12, v14
	s_delay_alu instid0(VALU_DEP_4)
	v_lshl_or_b32 v11, v11, 9, 0x7c00
	s_wait_alu 0xfffd
	v_cndmask_b32_e32 v10, 0x7c00, v10, vcc_lo
	v_cmp_gt_i32_e32 vcc_lo, 1, v21
	s_wait_alu 0xfffd
	v_cndmask_b32_e32 v17, v18, v17, vcc_lo
	v_cmp_eq_u32_e32 vcc_lo, 0x40f, v8
	v_mul_f64_e32 v[4:5], s[22:23], v[4:5]
	v_bfe_u32 v18, v3, 20, 11
	s_wait_alu 0xfffd
	v_dual_cndmask_b32 v8, v10, v11 :: v_dual_and_b32 v11, 7, v17
	v_lshrrev_b32_e32 v10, 16, v15
	v_cmp_ne_u32_e32 vcc_lo, 0, v2
	v_lshrrev_b32_e32 v15, 8, v3
	v_lshrrev_b32_e32 v3, 16, v3
	v_cmp_eq_u32_e64 s0, 3, v11
	v_and_or_b32 v8, 0x8000, v10, v8
	v_and_b32_e32 v10, 0xffff, v19
	s_wait_alu 0xfffd
	v_cndmask_b32_e64 v2, 0, 1, vcc_lo
	v_cmp_lt_i32_e32 vcc_lo, 5, v11
	v_and_or_b32 v6, 0x1ff, v7, v6
	v_lshl_or_b32 v8, v8, 16, v10
	v_lshrrev_b32_e32 v10, 2, v17
	v_and_or_b32 v2, 0xffe, v15, v2
	v_sub_nc_u32_e32 v15, 0x3f1, v18
	s_or_b32 vcc_lo, s0, vcc_lo
	v_lshrrev_b32_e32 v19, 8, v7
	s_wait_alu 0xfffe
	v_add_co_ci_u32_e32 v10, vcc_lo, 0, v10, vcc_lo
	v_or_b32_e32 v11, 0x1000, v2
	v_med3_i32 v15, v15, 0, 13
	v_cmp_ne_u32_e32 vcc_lo, 0, v14
	v_bfe_u32 v22, v7, 20, 11
	v_lshrrev_b32_e32 v7, 16, v7
	s_delay_alu instid0(VALU_DEP_4) | instskip(SKIP_3) | instid1(VALU_DEP_3)
	v_lshrrev_b32_e32 v17, v15, v11
	s_wait_alu 0xfffd
	v_cndmask_b32_e64 v14, 0, 1, vcc_lo
	v_cmp_gt_i32_e32 vcc_lo, 31, v21
	v_lshlrev_b32_e32 v15, v15, v17
	s_delay_alu instid0(VALU_DEP_3)
	v_lshl_or_b32 v14, v14, 9, 0x7c00
	s_wait_alu 0xfffd
	v_cndmask_b32_e32 v10, 0x7c00, v10, vcc_lo
	v_cmp_ne_u32_e32 vcc_lo, 0, v6
	v_and_or_b32 v4, 0x1ff, v5, v4
	s_wait_alu 0xfffd
	v_cndmask_b32_e64 v6, 0, 1, vcc_lo
	v_cmp_ne_u32_e32 vcc_lo, v15, v11
	v_add_nc_u32_e32 v15, 0xfffffc10, v18
	v_sub_nc_u32_e32 v18, 0x3f1, v22
	s_delay_alu instid0(VALU_DEP_4)
	v_and_or_b32 v6, 0xffe, v19, v6
	s_wait_alu 0xfffd
	v_cndmask_b32_e64 v11, 0, 1, vcc_lo
	v_cmp_eq_u32_e32 vcc_lo, 0x40f, v21
	v_med3_i32 v18, v18, 0, 13
	v_lshrrev_b32_e32 v19, 8, v5
	v_bfe_u32 v21, v5, 20, 11
	v_or_b32_e32 v11, v17, v11
	s_wait_alu 0xfffd
	v_cndmask_b32_e32 v10, v10, v14, vcc_lo
	v_lshl_or_b32 v14, v15, 12, v2
	v_or_b32_e32 v17, 0x1000, v6
	v_cmp_gt_i32_e32 vcc_lo, 1, v15
	v_lshrrev_b32_e32 v5, 16, v5
	v_and_or_b32 v9, 0x8000, v9, v10
	v_sub_nc_u32_e32 v10, 0x3f1, v21
	s_wait_alu 0xfffd
	v_cndmask_b32_e32 v11, v14, v11, vcc_lo
	v_lshrrev_b32_e32 v14, v18, v17
	v_cmp_ne_u32_e32 vcc_lo, 0, v4
	v_med3_i32 v10, v10, 0, 13
	v_and_b32_e32 v9, 0xffff, v9
	v_and_b32_e32 v23, 7, v11
	v_lshlrev_b32_e32 v18, v18, v14
	s_wait_alu 0xfffd
	v_cndmask_b32_e64 v4, 0, 1, vcc_lo
	v_lshrrev_b32_e32 v11, 2, v11
	v_cmp_lt_i32_e32 vcc_lo, 5, v23
	v_cmp_ne_u32_e64 s0, v18, v17
	s_delay_alu instid0(VALU_DEP_4) | instskip(SKIP_2) | instid1(VALU_DEP_3)
	v_and_or_b32 v4, 0xffe, v19, v4
	v_add_nc_u32_e32 v19, 0xfffffc10, v22
	s_wait_alu 0xf1ff
	v_cndmask_b32_e64 v17, 0, 1, s0
	v_cmp_eq_u32_e64 s0, 3, v23
	v_or_b32_e32 v18, 0x1000, v4
	v_lshl_or_b32 v22, v19, 12, v6
	s_delay_alu instid0(VALU_DEP_4) | instskip(NEXT) | instid1(VALU_DEP_4)
	v_or_b32_e32 v14, v14, v17
	s_or_b32 vcc_lo, s0, vcc_lo
	s_delay_alu instid0(VALU_DEP_3) | instskip(SKIP_3) | instid1(VALU_DEP_3)
	v_lshrrev_b32_e32 v17, v10, v18
	s_wait_alu 0xfffe
	v_add_co_ci_u32_e32 v11, vcc_lo, 0, v11, vcc_lo
	v_cmp_gt_i32_e32 vcc_lo, 1, v19
	v_lshlrev_b32_e32 v10, v10, v17
	s_wait_alu 0xfffd
	v_cndmask_b32_e32 v14, v22, v14, vcc_lo
	v_cmp_ne_u32_e32 vcc_lo, 0, v2
	s_wait_alu 0xfffd
	v_cndmask_b32_e64 v2, 0, 1, vcc_lo
	v_cmp_ne_u32_e32 vcc_lo, v10, v18
	v_add_nc_u32_e32 v18, 0xfffffc10, v21
	v_and_b32_e32 v21, 7, v14
	s_delay_alu instid0(VALU_DEP_4)
	v_lshl_or_b32 v2, v2, 9, 0x7c00
	s_wait_alu 0xfffd
	v_cndmask_b32_e64 v10, 0, 1, vcc_lo
	v_cmp_gt_i32_e32 vcc_lo, 31, v15
	v_cmp_gt_i32_e64 s1, 1, v18
	v_cmp_eq_u32_e64 s0, 3, v21
	s_delay_alu instid0(VALU_DEP_4)
	v_or_b32_e32 v10, v17, v10
	v_lshl_or_b32 v17, v18, 12, v4
	s_wait_alu 0xfffd
	v_cndmask_b32_e32 v11, 0x7c00, v11, vcc_lo
	v_cmp_lt_i32_e32 vcc_lo, 5, v21
	s_wait_alu 0xf1ff
	v_cndmask_b32_e64 v10, v17, v10, s1
	v_cmp_eq_u32_e64 s1, 0x40f, v15
	s_or_b32 vcc_lo, s0, vcc_lo
	s_delay_alu instid0(VALU_DEP_1)
	v_cndmask_b32_e64 v2, v11, v2, s1
	v_lshrrev_b32_e32 v11, 2, v14
	v_and_b32_e32 v14, 7, v10
	v_lshrrev_b32_e32 v10, 2, v10
	v_cmp_gt_i32_e64 s1, 31, v19
	s_wait_alu 0xfffe
	v_add_co_ci_u32_e32 v11, vcc_lo, 0, v11, vcc_lo
	v_cmp_ne_u32_e32 vcc_lo, 0, v6
	v_cmp_eq_u32_e64 s0, 3, v14
	s_wait_alu 0xf1ff
	s_delay_alu instid0(VALU_DEP_3) | instskip(SKIP_3) | instid1(VALU_DEP_2)
	v_cndmask_b32_e64 v11, 0x7c00, v11, s1
	s_wait_alu 0xfffd
	v_cndmask_b32_e64 v6, 0, 1, vcc_lo
	v_cmp_lt_i32_e32 vcc_lo, 5, v14
	v_lshl_or_b32 v6, v6, 9, 0x7c00
	s_or_b32 vcc_lo, s0, vcc_lo
	s_wait_alu 0xfffe
	v_add_co_ci_u32_e32 v10, vcc_lo, 0, v10, vcc_lo
	v_cmp_ne_u32_e32 vcc_lo, 0, v4
	s_wait_alu 0xfffd
	v_cndmask_b32_e64 v4, 0, 1, vcc_lo
	v_cmp_eq_u32_e32 vcc_lo, 0x40f, v19
	s_delay_alu instid0(VALU_DEP_2) | instskip(SKIP_4) | instid1(VALU_DEP_3)
	v_lshl_or_b32 v4, v4, 9, 0x7c00
	s_wait_alu 0xfffd
	v_cndmask_b32_e32 v6, v11, v6, vcc_lo
	v_cmp_gt_i32_e32 vcc_lo, 31, v18
	v_and_or_b32 v11, 0x8000, v3, v2
	v_and_or_b32 v6, 0x8000, v7, v6
	s_wait_alu 0xfffd
	v_cndmask_b32_e32 v10, 0x7c00, v10, vcc_lo
	v_cmp_eq_u32_e32 vcc_lo, 0x40f, v18
	v_lshl_or_b32 v9, v11, 16, v9
	v_and_b32_e32 v6, 0xffff, v6
	s_wait_alu 0xfffd
	v_cndmask_b32_e32 v4, v10, v4, vcc_lo
	v_add_co_u32 v2, vcc_lo, v0, s20
	s_wait_alu 0xfffd
	v_add_co_ci_u32_e32 v3, vcc_lo, s21, v1, vcc_lo
	s_delay_alu instid0(VALU_DEP_3) | instskip(NEXT) | instid1(VALU_DEP_3)
	v_and_or_b32 v7, 0x8000, v5, v4
	v_add_co_u32 v4, vcc_lo, v2, s20
	s_wait_alu 0xfffd
	s_delay_alu instid0(VALU_DEP_3) | instskip(NEXT) | instid1(VALU_DEP_3)
	v_add_co_ci_u32_e32 v5, vcc_lo, s21, v3, vcc_lo
	v_lshl_or_b32 v10, v7, 16, v6
	s_delay_alu instid0(VALU_DEP_3) | instskip(SKIP_1) | instid1(VALU_DEP_3)
	v_add_co_u32 v6, vcc_lo, v4, s20
	s_wait_alu 0xfffd
	v_add_co_ci_u32_e32 v7, vcc_lo, s21, v5, vcc_lo
	global_store_b32 v[12:13], v20, off
	global_store_b32 v[0:1], v16, off
	;; [unrolled: 1-line block ×5, first 2 shown]
.LBB0_15:
	s_nop 0
	s_sendmsg sendmsg(MSG_DEALLOC_VGPRS)
	s_endpgm
	.section	.rodata,"a",@progbits
	.p2align	6, 0x0
	.amdhsa_kernel bluestein_single_fwd_len275_dim1_half_op_CI_CI
		.amdhsa_group_segment_fixed_size 1100
		.amdhsa_private_segment_fixed_size 0
		.amdhsa_kernarg_size 104
		.amdhsa_user_sgpr_count 2
		.amdhsa_user_sgpr_dispatch_ptr 0
		.amdhsa_user_sgpr_queue_ptr 0
		.amdhsa_user_sgpr_kernarg_segment_ptr 1
		.amdhsa_user_sgpr_dispatch_id 0
		.amdhsa_user_sgpr_private_segment_size 0
		.amdhsa_wavefront_size32 1
		.amdhsa_uses_dynamic_stack 0
		.amdhsa_enable_private_segment 0
		.amdhsa_system_sgpr_workgroup_id_x 1
		.amdhsa_system_sgpr_workgroup_id_y 0
		.amdhsa_system_sgpr_workgroup_id_z 0
		.amdhsa_system_sgpr_workgroup_info 0
		.amdhsa_system_vgpr_workitem_id 0
		.amdhsa_next_free_vgpr 109
		.amdhsa_next_free_sgpr 24
		.amdhsa_reserve_vcc 1
		.amdhsa_float_round_mode_32 0
		.amdhsa_float_round_mode_16_64 0
		.amdhsa_float_denorm_mode_32 3
		.amdhsa_float_denorm_mode_16_64 3
		.amdhsa_fp16_overflow 0
		.amdhsa_workgroup_processor_mode 1
		.amdhsa_memory_ordered 1
		.amdhsa_forward_progress 0
		.amdhsa_round_robin_scheduling 0
		.amdhsa_exception_fp_ieee_invalid_op 0
		.amdhsa_exception_fp_denorm_src 0
		.amdhsa_exception_fp_ieee_div_zero 0
		.amdhsa_exception_fp_ieee_overflow 0
		.amdhsa_exception_fp_ieee_underflow 0
		.amdhsa_exception_fp_ieee_inexact 0
		.amdhsa_exception_int_div_zero 0
	.end_amdhsa_kernel
	.text
.Lfunc_end0:
	.size	bluestein_single_fwd_len275_dim1_half_op_CI_CI, .Lfunc_end0-bluestein_single_fwd_len275_dim1_half_op_CI_CI
                                        ; -- End function
	.section	.AMDGPU.csdata,"",@progbits
; Kernel info:
; codeLenInByte = 16512
; NumSgprs: 26
; NumVgprs: 109
; ScratchSize: 0
; MemoryBound: 0
; FloatMode: 240
; IeeeMode: 1
; LDSByteSize: 1100 bytes/workgroup (compile time only)
; SGPRBlocks: 3
; VGPRBlocks: 13
; NumSGPRsForWavesPerEU: 26
; NumVGPRsForWavesPerEU: 109
; Occupancy: 12
; WaveLimiterHint : 1
; COMPUTE_PGM_RSRC2:SCRATCH_EN: 0
; COMPUTE_PGM_RSRC2:USER_SGPR: 2
; COMPUTE_PGM_RSRC2:TRAP_HANDLER: 0
; COMPUTE_PGM_RSRC2:TGID_X_EN: 1
; COMPUTE_PGM_RSRC2:TGID_Y_EN: 0
; COMPUTE_PGM_RSRC2:TGID_Z_EN: 0
; COMPUTE_PGM_RSRC2:TIDIG_COMP_CNT: 0
	.text
	.p2alignl 7, 3214868480
	.fill 96, 4, 3214868480
	.type	__hip_cuid_899d7f1fbd3a0dfd,@object ; @__hip_cuid_899d7f1fbd3a0dfd
	.section	.bss,"aw",@nobits
	.globl	__hip_cuid_899d7f1fbd3a0dfd
__hip_cuid_899d7f1fbd3a0dfd:
	.byte	0                               ; 0x0
	.size	__hip_cuid_899d7f1fbd3a0dfd, 1

	.ident	"AMD clang version 19.0.0git (https://github.com/RadeonOpenCompute/llvm-project roc-6.4.0 25133 c7fe45cf4b819c5991fe208aaa96edf142730f1d)"
	.section	".note.GNU-stack","",@progbits
	.addrsig
	.addrsig_sym __hip_cuid_899d7f1fbd3a0dfd
	.amdgpu_metadata
---
amdhsa.kernels:
  - .args:
      - .actual_access:  read_only
        .address_space:  global
        .offset:         0
        .size:           8
        .value_kind:     global_buffer
      - .actual_access:  read_only
        .address_space:  global
        .offset:         8
        .size:           8
        .value_kind:     global_buffer
      - .actual_access:  read_only
        .address_space:  global
        .offset:         16
        .size:           8
        .value_kind:     global_buffer
      - .actual_access:  read_only
        .address_space:  global
        .offset:         24
        .size:           8
        .value_kind:     global_buffer
      - .actual_access:  read_only
        .address_space:  global
        .offset:         32
        .size:           8
        .value_kind:     global_buffer
      - .offset:         40
        .size:           8
        .value_kind:     by_value
      - .address_space:  global
        .offset:         48
        .size:           8
        .value_kind:     global_buffer
      - .address_space:  global
        .offset:         56
        .size:           8
        .value_kind:     global_buffer
      - .address_space:  global
        .offset:         64
        .size:           8
        .value_kind:     global_buffer
      - .address_space:  global
        .offset:         72
        .size:           8
        .value_kind:     global_buffer
      - .offset:         80
        .size:           4
        .value_kind:     by_value
      - .address_space:  global
        .offset:         88
        .size:           8
        .value_kind:     global_buffer
      - .address_space:  global
        .offset:         96
        .size:           8
        .value_kind:     global_buffer
    .group_segment_fixed_size: 1100
    .kernarg_segment_align: 8
    .kernarg_segment_size: 104
    .language:       OpenCL C
    .language_version:
      - 2
      - 0
    .max_flat_workgroup_size: 55
    .name:           bluestein_single_fwd_len275_dim1_half_op_CI_CI
    .private_segment_fixed_size: 0
    .sgpr_count:     26
    .sgpr_spill_count: 0
    .symbol:         bluestein_single_fwd_len275_dim1_half_op_CI_CI.kd
    .uniform_work_group_size: 1
    .uses_dynamic_stack: false
    .vgpr_count:     109
    .vgpr_spill_count: 0
    .wavefront_size: 32
    .workgroup_processor_mode: 1
amdhsa.target:   amdgcn-amd-amdhsa--gfx1201
amdhsa.version:
  - 1
  - 2
...

	.end_amdgpu_metadata
